;; amdgpu-corpus repo=zjin-lcf/HeCBench kind=compiled arch=gfx906 opt=O3
	.amdgcn_target "amdgcn-amd-amdhsa--gfx906"
	.amdhsa_code_object_version 6
	.text
	.protected	_Z9make_backPK11dsu3_matrixS1_PKmS3_PS_S4_i ; -- Begin function _Z9make_backPK11dsu3_matrixS1_PKmS3_PS_S4_i
	.globl	_Z9make_backPK11dsu3_matrixS1_PKmS3_PS_S4_i
	.p2align	8
	.type	_Z9make_backPK11dsu3_matrixS1_PKmS3_PS_S4_i,@function
_Z9make_backPK11dsu3_matrixS1_PKmS3_PS_S4_i: ; @_Z9make_backPK11dsu3_matrixS1_PKmS3_PS_S4_i
; %bb.0:
	s_load_dword s0, s[4:5], 0x30
	s_load_dword s2, s[4:5], 0x44
	v_mov_b32_e32 v5, 0
	s_waitcnt lgkmcnt(0)
	s_ashr_i32 s1, s0, 31
	s_and_b32 s2, s2, 0xffff
	s_mul_i32 s6, s6, s2
	v_add_u32_e32 v4, s6, v0
	v_cmp_gt_u64_e32 vcc, s[0:1], v[4:5]
	s_and_saveexec_b64 s[0:1], vcc
	s_cbranch_execz .LBB0_3
; %bb.1:
	s_load_dwordx4 s[0:3], s[4:5], 0x20
	v_lshlrev_b32_e32 v6, 2, v4
	s_movk_i32 s6, 0x90
	s_load_dwordx8 s[8:15], s[4:5], 0x0
	s_waitcnt lgkmcnt(0)
	v_mov_b32_e32 v0, s0
	v_mov_b32_e32 v2, s2
	;; [unrolled: 1-line block ×4, first 2 shown]
	v_mad_u64_u32 v[0:1], s[0:1], v6, s6, v[0:1]
	v_mad_u64_u32 v[2:3], s[0:1], v6, s6, v[2:3]
	v_lshrrev_b32_e32 v6, 30, v4
	v_mad_u32_u24 v1, v6, s6, v1
	v_mad_u32_u24 v3, v6, s6, v3
	v_lshlrev_b64 v[6:7], 5, v[4:5]
	v_mov_b32_e32 v5, s15
	v_add_co_u32_e32 v4, vcc, s14, v6
	v_addc_co_u32_e32 v5, vcc, v5, v7, vcc
	v_mov_b32_e32 v8, s13
	v_add_co_u32_e32 v6, vcc, s12, v6
	v_addc_co_u32_e32 v7, vcc, v8, v7, vcc
	s_mov_b64 s[0:1], 0
	s_movk_i32 s2, 0x240
.LBB0_2:                                ; =>This Inner Loop Header: Depth=1
	global_load_dwordx2 v[8:9], v[6:7], off
	global_load_dwordx2 v[10:11], v[4:5], off
	s_add_u32 s4, s8, s0
	s_addc_u32 s5, s9, s1
	v_mov_b32_e32 v13, s5
	v_mov_b32_e32 v12, s4
	s_add_u32 s4, s10, s0
	s_addc_u32 s5, s11, s1
	v_mov_b32_e32 v15, s5
	v_mov_b32_e32 v14, s4
	v_mov_b32_e32 v18, s1
	v_mov_b32_e32 v19, s1
	s_waitcnt vmcnt(1)
	v_mad_u64_u32 v[12:13], s[4:5], v8, s2, v[12:13]
	s_waitcnt vmcnt(0)
	v_mad_u64_u32 v[16:17], s[4:5], v10, s2, v[14:15]
	v_mov_b32_e32 v8, v13
	v_mad_u64_u32 v[8:9], s[4:5], v9, s2, v[8:9]
	v_mov_b32_e32 v9, v17
	;; [unrolled: 2-line block ×3, first 2 shown]
	v_add_co_u32_e32 v14, vcc, s0, v0
	v_mov_b32_e32 v17, v9
	global_load_dwordx4 v[8:11], v[12:13], off
	v_addc_co_u32_e32 v15, vcc, v1, v18, vcc
	v_add_co_u32_e32 v18, vcc, s0, v2
	v_addc_co_u32_e32 v19, vcc, v3, v19, vcc
	v_add_co_u32_e32 v4, vcc, 8, v4
	v_addc_co_u32_e32 v5, vcc, 0, v5, vcc
	s_add_u32 s0, s0, 0x90
	v_add_co_u32_e32 v6, vcc, 8, v6
	s_addc_u32 s1, s1, 0
	v_addc_co_u32_e32 v7, vcc, 0, v7, vcc
	s_cmpk_lg_i32 s0, 0x240
	s_waitcnt vmcnt(0)
	v_xor_b32_e32 v11, 0x80000000, v11
	global_store_dwordx4 v[14:15], v[8:11], off
	global_load_dwordx4 v[8:11], v[12:13], off offset:48
	s_waitcnt vmcnt(0)
	v_xor_b32_e32 v11, 0x80000000, v11
	global_store_dwordx4 v[14:15], v[8:11], off offset:16
	global_load_dwordx4 v[8:11], v[12:13], off offset:96
	s_waitcnt vmcnt(0)
	v_xor_b32_e32 v11, 0x80000000, v11
	global_store_dwordx4 v[14:15], v[8:11], off offset:32
	;; [unrolled: 4-line block ×8, first 2 shown]
	global_load_dwordx4 v[8:11], v[16:17], off
	s_nop 0
	global_load_dwordx4 v[12:15], v[16:17], off offset:48
	s_waitcnt vmcnt(1)
	v_xor_b32_e32 v11, 0x80000000, v11
	global_store_dwordx4 v[18:19], v[8:11], off
	global_load_dwordx4 v[8:11], v[16:17], off offset:96
	s_waitcnt vmcnt(2)
	v_xor_b32_e32 v15, 0x80000000, v15
	global_store_dwordx4 v[18:19], v[12:15], off offset:16
	global_load_dwordx4 v[12:15], v[16:17], off offset:16
	s_waitcnt vmcnt(2)
	v_xor_b32_e32 v11, 0x80000000, v11
	global_store_dwordx4 v[18:19], v[8:11], off offset:32
	;; [unrolled: 4-line block ×3, first 2 shown]
	global_load_dwordx4 v[8:11], v[16:17], off offset:32
	v_xor_b32_e32 v15, 0x80000000, v15
	global_store_dwordx4 v[18:19], v[12:15], off offset:48
	global_load_dwordx4 v[12:15], v[16:17], off offset:112
	s_waitcnt vmcnt(2)
	v_xor_b32_e32 v11, 0x80000000, v11
	global_store_dwordx4 v[18:19], v[8:11], off offset:96
	global_load_dwordx4 v[8:11], v[16:17], off offset:128
	s_waitcnt vmcnt(2)
	;; [unrolled: 4-line block ×3, first 2 shown]
	v_xor_b32_e32 v11, 0x80000000, v11
	s_waitcnt vmcnt(0)
	v_xor_b32_e32 v15, 0x80000000, v15
	global_store_dwordx4 v[18:19], v[12:15], off offset:112
	global_store_dwordx4 v[18:19], v[8:11], off offset:128
	s_cbranch_scc1 .LBB0_2
.LBB0_3:
	s_endpgm
	.section	.rodata,"a",@progbits
	.p2align	6, 0x0
	.amdhsa_kernel _Z9make_backPK11dsu3_matrixS1_PKmS3_PS_S4_i
		.amdhsa_group_segment_fixed_size 0
		.amdhsa_private_segment_fixed_size 0
		.amdhsa_kernarg_size 312
		.amdhsa_user_sgpr_count 6
		.amdhsa_user_sgpr_private_segment_buffer 1
		.amdhsa_user_sgpr_dispatch_ptr 0
		.amdhsa_user_sgpr_queue_ptr 0
		.amdhsa_user_sgpr_kernarg_segment_ptr 1
		.amdhsa_user_sgpr_dispatch_id 0
		.amdhsa_user_sgpr_flat_scratch_init 0
		.amdhsa_user_sgpr_private_segment_size 0
		.amdhsa_uses_dynamic_stack 0
		.amdhsa_system_sgpr_private_segment_wavefront_offset 0
		.amdhsa_system_sgpr_workgroup_id_x 1
		.amdhsa_system_sgpr_workgroup_id_y 0
		.amdhsa_system_sgpr_workgroup_id_z 0
		.amdhsa_system_sgpr_workgroup_info 0
		.amdhsa_system_vgpr_workitem_id 0
		.amdhsa_next_free_vgpr 20
		.amdhsa_next_free_sgpr 16
		.amdhsa_reserve_vcc 1
		.amdhsa_reserve_flat_scratch 0
		.amdhsa_float_round_mode_32 0
		.amdhsa_float_round_mode_16_64 0
		.amdhsa_float_denorm_mode_32 3
		.amdhsa_float_denorm_mode_16_64 3
		.amdhsa_dx10_clamp 1
		.amdhsa_ieee_mode 1
		.amdhsa_fp16_overflow 0
		.amdhsa_exception_fp_ieee_invalid_op 0
		.amdhsa_exception_fp_denorm_src 0
		.amdhsa_exception_fp_ieee_div_zero 0
		.amdhsa_exception_fp_ieee_overflow 0
		.amdhsa_exception_fp_ieee_underflow 0
		.amdhsa_exception_fp_ieee_inexact 0
		.amdhsa_exception_int_div_zero 0
	.end_amdhsa_kernel
	.text
.Lfunc_end0:
	.size	_Z9make_backPK11dsu3_matrixS1_PKmS3_PS_S4_i, .Lfunc_end0-_Z9make_backPK11dsu3_matrixS1_PKmS3_PS_S4_i
                                        ; -- End function
	.set _Z9make_backPK11dsu3_matrixS1_PKmS3_PS_S4_i.num_vgpr, 20
	.set _Z9make_backPK11dsu3_matrixS1_PKmS3_PS_S4_i.num_agpr, 0
	.set _Z9make_backPK11dsu3_matrixS1_PKmS3_PS_S4_i.numbered_sgpr, 16
	.set _Z9make_backPK11dsu3_matrixS1_PKmS3_PS_S4_i.num_named_barrier, 0
	.set _Z9make_backPK11dsu3_matrixS1_PKmS3_PS_S4_i.private_seg_size, 0
	.set _Z9make_backPK11dsu3_matrixS1_PKmS3_PS_S4_i.uses_vcc, 1
	.set _Z9make_backPK11dsu3_matrixS1_PKmS3_PS_S4_i.uses_flat_scratch, 0
	.set _Z9make_backPK11dsu3_matrixS1_PKmS3_PS_S4_i.has_dyn_sized_stack, 0
	.set _Z9make_backPK11dsu3_matrixS1_PKmS3_PS_S4_i.has_recursion, 0
	.set _Z9make_backPK11dsu3_matrixS1_PKmS3_PS_S4_i.has_indirect_call, 0
	.section	.AMDGPU.csdata,"",@progbits
; Kernel info:
; codeLenInByte = 848
; TotalNumSgprs: 20
; NumVgprs: 20
; ScratchSize: 0
; MemoryBound: 1
; FloatMode: 240
; IeeeMode: 1
; LDSByteSize: 0 bytes/workgroup (compile time only)
; SGPRBlocks: 2
; VGPRBlocks: 4
; NumSGPRsForWavesPerEU: 20
; NumVGPRsForWavesPerEU: 20
; Occupancy: 10
; WaveLimiterHint : 1
; COMPUTE_PGM_RSRC2:SCRATCH_EN: 0
; COMPUTE_PGM_RSRC2:USER_SGPR: 6
; COMPUTE_PGM_RSRC2:TRAP_HANDLER: 0
; COMPUTE_PGM_RSRC2:TGID_X_EN: 1
; COMPUTE_PGM_RSRC2:TGID_Y_EN: 0
; COMPUTE_PGM_RSRC2:TGID_Z_EN: 0
; COMPUTE_PGM_RSRC2:TIDIG_COMP_CNT: 0
	.text
	.protected	_Z6dslashPK11dsu3_matrixS1_S1_S1_PK11dsu3_vectorPS2_PKmS7_S7_S7_i ; -- Begin function _Z6dslashPK11dsu3_matrixS1_S1_S1_PK11dsu3_vectorPS2_PKmS7_S7_S7_i
	.globl	_Z6dslashPK11dsu3_matrixS1_S1_S1_PK11dsu3_vectorPS2_PKmS7_S7_S7_i
	.p2align	8
	.type	_Z6dslashPK11dsu3_matrixS1_S1_S1_PK11dsu3_vectorPS2_PKmS7_S7_S7_i,@function
_Z6dslashPK11dsu3_matrixS1_S1_S1_PK11dsu3_vectorPS2_PKmS7_S7_S7_i: ; @_Z6dslashPK11dsu3_matrixS1_S1_S1_PK11dsu3_vectorPS2_PKmS7_S7_S7_i
; %bb.0:
	s_mov_b64 s[26:27], s[2:3]
	s_mov_b64 s[24:25], s[0:1]
	s_load_dword s0, s[4:5], 0x50
	s_load_dword s2, s[4:5], 0x64
	s_add_u32 s24, s24, s7
	s_addc_u32 s25, s25, 0
	v_mov_b32_e32 v1, 0
	s_waitcnt lgkmcnt(0)
	s_ashr_i32 s1, s0, 31
	s_and_b32 s2, s2, 0xffff
	s_mul_i32 s6, s6, s2
	v_add_u32_e32 v0, s6, v0
	v_cmp_gt_u64_e32 vcc, s[0:1], v[0:1]
	s_and_saveexec_b64 s[0:1], vcc
	s_cbranch_execz .LBB1_2
; %bb.1:
	s_load_dwordx4 s[0:3], s[4:5], 0x40
	s_load_dwordx8 s[16:23], s[4:5], 0x0
	s_load_dwordx8 s[8:15], s[4:5], 0x20
	s_movk_i32 s4, 0x240
	v_mad_u64_u32 v[3:4], s[4:5], v0, s4, 0
	s_waitcnt lgkmcnt(0)
	v_mov_b32_e32 v2, s17
	v_mad_u64_u32 v[54:55], s[4:5], v0, 48, s[10:11]
	v_add_co_u32_e32 v36, vcc, s16, v3
	v_mov_b32_e32 v57, v4
	v_addc_co_u32_e32 v37, vcc, v2, v4, vcc
	v_mov_b32_e32 v56, v3
	v_lshlrev_b64 v[2:3], 5, v[0:1]
	v_mov_b32_e32 v1, s13
	v_add_co_u32_e32 v4, vcc, s12, v2
	v_addc_co_u32_e32 v5, vcc, v1, v3, vcc
	v_mov_b32_e32 v59, v3
	v_mov_b32_e32 v58, v2
	global_load_dwordx4 v[0:3], v[4:5], off offset:16
	global_load_dwordx4 v[10:13], v[4:5], off
	s_waitcnt vmcnt(0)
	v_mad_u64_u32 v[26:27], s[4:5], v10, 48, s[8:9]
	v_mov_b32_e32 v4, v27
	v_mad_u64_u32 v[4:5], s[4:5], v11, 48, v[4:5]
	v_mov_b32_e32 v27, v4
	global_load_dwordx4 v[4:7], v[36:37], off offset:48
	global_load_dwordx4 v[14:17], v[36:37], off offset:32
	global_load_dwordx4 v[8:11], v[36:37], off offset:16
	global_load_dwordx4 v[18:21], v[36:37], off
	global_load_dwordx4 v[28:31], v[26:27], off offset:32
	global_load_dwordx4 v[22:25], v[26:27], off offset:16
	global_load_dwordx4 v[32:35], v[26:27], off
	s_waitcnt vmcnt(0)
	v_mul_f64 v[26:27], v[20:21], v[34:35]
	v_fma_f64 v[26:27], v[18:19], v[32:33], -v[26:27]
	v_mul_f64 v[18:19], v[18:19], v[34:35]
	v_add_f64 v[26:27], v[26:27], 0
	v_fma_f64 v[18:19], v[32:33], v[20:21], v[18:19]
	v_mul_f64 v[20:21], v[10:11], v[24:25]
	v_add_f64 v[18:19], v[18:19], 0
	v_fma_f64 v[20:21], v[8:9], v[22:23], -v[20:21]
	v_mul_f64 v[8:9], v[8:9], v[24:25]
	v_add_f64 v[20:21], v[26:27], v[20:21]
	v_fma_f64 v[8:9], v[22:23], v[10:11], v[8:9]
	v_add_f64 v[10:11], v[18:19], v[8:9]
	v_mul_f64 v[8:9], v[16:17], v[30:31]
	v_fma_f64 v[8:9], v[14:15], v[28:29], -v[8:9]
	v_mul_f64 v[14:15], v[14:15], v[30:31]
	v_add_f64 v[8:9], v[20:21], v[8:9]
	v_fma_f64 v[14:15], v[28:29], v[16:17], v[14:15]
	v_add_f64 v[10:11], v[10:11], v[14:15]
	v_mul_f64 v[14:15], v[34:35], v[6:7]
	v_mul_f64 v[6:7], v[32:33], v[6:7]
	global_store_dwordx4 v[54:55], v[8:11], off
	v_fma_f64 v[14:15], v[32:33], v[4:5], -v[14:15]
	v_fma_f64 v[4:5], v[34:35], v[4:5], v[6:7]
	v_add_f64 v[26:27], v[14:15], 0
	v_add_f64 v[42:43], v[4:5], 0
	global_load_dwordx4 v[14:17], v[36:37], off offset:112
	global_load_dwordx4 v[18:21], v[36:37], off offset:96
	;; [unrolled: 1-line block ×4, first 2 shown]
	s_waitcnt vmcnt(0)
	v_mul_f64 v[44:45], v[24:25], v[6:7]
	v_mul_f64 v[6:7], v[22:23], v[6:7]
	v_fma_f64 v[44:45], v[22:23], v[4:5], -v[44:45]
	v_fma_f64 v[4:5], v[24:25], v[4:5], v[6:7]
	v_add_f64 v[26:27], v[26:27], v[44:45]
	v_add_f64 v[6:7], v[42:43], v[4:5]
	v_mul_f64 v[4:5], v[30:31], v[40:41]
	v_fma_f64 v[4:5], v[28:29], v[38:39], -v[4:5]
	v_add_f64 v[4:5], v[26:27], v[4:5]
	v_mul_f64 v[26:27], v[28:29], v[40:41]
	v_fma_f64 v[26:27], v[30:31], v[38:39], v[26:27]
	v_add_f64 v[6:7], v[6:7], v[26:27]
	v_mul_f64 v[26:27], v[34:35], v[20:21]
	v_mul_f64 v[20:21], v[32:33], v[20:21]
	global_store_dwordx4 v[54:55], v[4:7], off offset:16
	v_fma_f64 v[26:27], v[32:33], v[18:19], -v[26:27]
	v_fma_f64 v[18:19], v[34:35], v[18:19], v[20:21]
	v_mul_f64 v[20:21], v[24:25], v[16:17]
	v_mul_f64 v[16:17], v[22:23], v[16:17]
	v_add_f64 v[26:27], v[26:27], 0
	v_add_f64 v[18:19], v[18:19], 0
	v_fma_f64 v[20:21], v[22:23], v[14:15], -v[20:21]
	v_fma_f64 v[14:15], v[24:25], v[14:15], v[16:17]
	v_add_f64 v[38:39], v[26:27], v[20:21]
	v_add_f64 v[14:15], v[18:19], v[14:15]
	global_load_dwordx4 v[16:19], v[36:37], off offset:176
	global_load_dwordx4 v[20:23], v[36:37], off offset:160
	global_load_dwordx4 v[24:27], v[36:37], off offset:144
	global_load_dwordx4 v[32:35], v[36:37], off offset:128
	s_waitcnt vmcnt(0)
	v_mul_f64 v[40:41], v[30:31], v[34:35]
	v_fma_f64 v[40:41], v[28:29], v[32:33], -v[40:41]
	v_mul_f64 v[28:29], v[28:29], v[34:35]
	v_add_f64 v[38:39], v[38:39], v[40:41]
	v_fma_f64 v[28:29], v[30:31], v[32:33], v[28:29]
	v_mad_u64_u32 v[32:33], s[4:5], v12, 48, s[8:9]
	v_mov_b32_e32 v12, v33
	v_mad_u64_u32 v[12:13], s[4:5], v13, 48, v[12:13]
	v_add_f64 v[40:41], v[14:15], v[28:29]
	v_mov_b32_e32 v33, v12
	global_load_dwordx4 v[12:15], v[32:33], off offset:32
	global_load_dwordx4 v[28:31], v[32:33], off offset:16
	s_nop 0
	global_load_dwordx4 v[32:35], v[32:33], off
	s_waitcnt vmcnt(0)
	v_mul_f64 v[42:43], v[26:27], v[34:35]
	v_fma_f64 v[42:43], v[24:25], v[32:33], -v[42:43]
	v_mul_f64 v[24:25], v[24:25], v[34:35]
	v_add_f64 v[42:43], v[42:43], 0
	v_fma_f64 v[24:25], v[32:33], v[26:27], v[24:25]
	v_mul_f64 v[26:27], v[22:23], v[30:31]
	v_add_f64 v[24:25], v[24:25], 0
	v_fma_f64 v[26:27], v[20:21], v[28:29], -v[26:27]
	v_mul_f64 v[20:21], v[20:21], v[30:31]
	v_add_f64 v[26:27], v[42:43], v[26:27]
	v_fma_f64 v[20:21], v[28:29], v[22:23], v[20:21]
	v_mul_f64 v[22:23], v[18:19], v[14:15]
	v_add_f64 v[20:21], v[24:25], v[20:21]
	v_fma_f64 v[22:23], v[16:17], v[12:13], -v[22:23]
	v_mul_f64 v[16:17], v[16:17], v[14:15]
	v_add_f64 v[22:23], v[26:27], v[22:23]
	v_fma_f64 v[16:17], v[12:13], v[18:19], v[16:17]
	v_add_f64 v[18:19], v[20:21], v[16:17]
	v_add_f64 v[16:17], v[8:9], v[22:23]
	;; [unrolled: 1-line block ×3, first 2 shown]
	global_load_dwordx4 v[8:11], v[36:37], off offset:240
	global_load_dwordx4 v[20:23], v[36:37], off offset:224
	;; [unrolled: 1-line block ×4, first 2 shown]
	s_waitcnt vmcnt(0)
	v_mul_f64 v[46:47], v[34:35], v[44:45]
	v_mul_f64 v[44:45], v[32:33], v[44:45]
	v_fma_f64 v[46:47], v[32:33], v[42:43], -v[46:47]
	v_fma_f64 v[42:43], v[34:35], v[42:43], v[44:45]
	v_mul_f64 v[44:45], v[30:31], v[26:27]
	v_mul_f64 v[26:27], v[28:29], v[26:27]
	v_add_f64 v[46:47], v[46:47], 0
	v_add_f64 v[42:43], v[42:43], 0
	v_fma_f64 v[44:45], v[28:29], v[24:25], -v[44:45]
	v_fma_f64 v[24:25], v[30:31], v[24:25], v[26:27]
	v_mul_f64 v[26:27], v[14:15], v[22:23]
	v_mul_f64 v[22:23], v[12:13], v[22:23]
	v_add_f64 v[44:45], v[46:47], v[44:45]
	v_add_f64 v[24:25], v[42:43], v[24:25]
	v_fma_f64 v[26:27], v[12:13], v[20:21], -v[26:27]
	v_fma_f64 v[20:21], v[14:15], v[20:21], v[22:23]
	v_add_f64 v[26:27], v[44:45], v[26:27]
	v_add_f64 v[20:21], v[24:25], v[20:21]
	;; [unrolled: 1-line block ×3, first 2 shown]
	v_mul_f64 v[4:5], v[34:35], v[10:11]
	v_add_f64 v[26:27], v[20:21], v[6:7]
	v_fma_f64 v[4:5], v[32:33], v[8:9], -v[4:5]
	v_add_f64 v[42:43], v[4:5], 0
	v_mul_f64 v[4:5], v[32:33], v[10:11]
	v_fma_f64 v[4:5], v[34:35], v[8:9], v[4:5]
	v_add_f64 v[44:45], v[4:5], 0
	global_load_dwordx4 v[4:7], v[36:37], off offset:304
	global_load_dwordx4 v[8:11], v[36:37], off offset:288
	;; [unrolled: 1-line block ×4, first 2 shown]
	s_waitcnt vmcnt(0)
	v_mul_f64 v[46:47], v[30:31], v[34:35]
	v_fma_f64 v[46:47], v[28:29], v[32:33], -v[46:47]
	v_mul_f64 v[28:29], v[28:29], v[34:35]
	v_add_f64 v[42:43], v[42:43], v[46:47]
	v_fma_f64 v[28:29], v[30:31], v[32:33], v[28:29]
	v_mul_f64 v[30:31], v[14:15], v[22:23]
	v_add_f64 v[28:29], v[44:45], v[28:29]
	v_fma_f64 v[30:31], v[12:13], v[20:21], -v[30:31]
	v_mul_f64 v[12:13], v[12:13], v[22:23]
	v_add_f64 v[30:31], v[42:43], v[30:31]
	v_fma_f64 v[12:13], v[14:15], v[20:21], v[12:13]
	v_mad_u64_u32 v[20:21], s[4:5], v0, 48, s[8:9]
	v_mov_b32_e32 v0, v21
	v_mad_u64_u32 v[0:1], s[4:5], v1, 48, v[0:1]
	v_add_f64 v[12:13], v[28:29], v[12:13]
	v_add_f64 v[42:43], v[38:39], v[30:31]
	v_mov_b32_e32 v21, v0
	v_add_f64 v[44:45], v[12:13], v[40:41]
	global_load_dwordx4 v[12:15], v[20:21], off offset:32
	global_load_dwordx4 v[28:31], v[20:21], off offset:16
	global_load_dwordx4 v[32:35], v[20:21], off
	s_waitcnt vmcnt(0)
	v_mul_f64 v[0:1], v[10:11], v[34:35]
	v_fma_f64 v[0:1], v[8:9], v[32:33], -v[0:1]
	v_mul_f64 v[8:9], v[8:9], v[34:35]
	v_add_f64 v[0:1], v[0:1], 0
	v_fma_f64 v[8:9], v[32:33], v[10:11], v[8:9]
	v_mul_f64 v[10:11], v[6:7], v[30:31]
	v_add_f64 v[8:9], v[8:9], 0
	v_fma_f64 v[10:11], v[4:5], v[28:29], -v[10:11]
	v_mul_f64 v[4:5], v[4:5], v[30:31]
	v_add_f64 v[0:1], v[0:1], v[10:11]
	v_fma_f64 v[4:5], v[28:29], v[6:7], v[4:5]
	v_add_f64 v[46:47], v[8:9], v[4:5]
	global_load_dwordx4 v[4:7], v[36:37], off offset:368
	global_load_dwordx4 v[8:11], v[36:37], off offset:352
	global_load_dwordx4 v[38:41], v[36:37], off offset:336
	global_load_dwordx4 v[20:23], v[36:37], off offset:320
	s_waitcnt vmcnt(0)
	v_mul_f64 v[48:49], v[22:23], v[14:15]
	v_fma_f64 v[48:49], v[20:21], v[12:13], -v[48:49]
	v_mul_f64 v[20:21], v[20:21], v[14:15]
	v_add_f64 v[0:1], v[0:1], v[48:49]
	v_fma_f64 v[20:21], v[12:13], v[22:23], v[20:21]
	v_add_f64 v[22:23], v[46:47], v[20:21]
	v_add_f64 v[20:21], v[16:17], v[0:1]
	v_mul_f64 v[16:17], v[32:33], v[40:41]
	v_mul_f64 v[0:1], v[34:35], v[40:41]
	v_add_f64 v[22:23], v[22:23], v[18:19]
	v_mul_f64 v[18:19], v[30:31], v[10:11]
	v_fma_f64 v[16:17], v[34:35], v[38:39], v[16:17]
	v_mul_f64 v[10:11], v[28:29], v[10:11]
	v_fma_f64 v[0:1], v[32:33], v[38:39], -v[0:1]
	v_fma_f64 v[18:19], v[28:29], v[8:9], -v[18:19]
	v_add_f64 v[16:17], v[16:17], 0
	v_fma_f64 v[8:9], v[30:31], v[8:9], v[10:11]
	v_mul_f64 v[10:11], v[14:15], v[6:7]
	v_mul_f64 v[6:7], v[12:13], v[6:7]
	v_add_f64 v[0:1], v[0:1], 0
	v_add_f64 v[8:9], v[16:17], v[8:9]
	v_fma_f64 v[10:11], v[12:13], v[4:5], -v[10:11]
	v_fma_f64 v[4:5], v[14:15], v[4:5], v[6:7]
	v_add_f64 v[0:1], v[0:1], v[18:19]
	v_add_f64 v[4:5], v[8:9], v[4:5]
	;; [unrolled: 1-line block ×4, first 2 shown]
	global_load_dwordx4 v[8:11], v[36:37], off offset:432
	global_load_dwordx4 v[4:7], v[36:37], off offset:416
	;; [unrolled: 1-line block ×4, first 2 shown]
	v_add_f64 v[24:25], v[24:25], v[0:1]
	s_waitcnt vmcnt(0)
	v_mul_f64 v[0:1], v[34:35], v[40:41]
	v_fma_f64 v[0:1], v[32:33], v[38:39], -v[0:1]
	v_mul_f64 v[32:33], v[32:33], v[40:41]
	v_add_f64 v[0:1], v[0:1], 0
	v_fma_f64 v[32:33], v[34:35], v[38:39], v[32:33]
	v_mul_f64 v[34:35], v[30:31], v[18:19]
	v_mul_f64 v[18:19], v[28:29], v[18:19]
	v_add_f64 v[32:33], v[32:33], 0
	v_fma_f64 v[34:35], v[28:29], v[16:17], -v[34:35]
	v_fma_f64 v[16:17], v[30:31], v[16:17], v[18:19]
	v_mul_f64 v[18:19], v[14:15], v[6:7]
	v_mul_f64 v[6:7], v[12:13], v[6:7]
	v_add_f64 v[0:1], v[0:1], v[34:35]
	v_add_f64 v[16:17], v[32:33], v[16:17]
	v_fma_f64 v[18:19], v[12:13], v[4:5], -v[18:19]
	v_fma_f64 v[4:5], v[14:15], v[4:5], v[6:7]
	v_add_f64 v[0:1], v[0:1], v[18:19]
	v_add_f64 v[6:7], v[16:17], v[4:5]
	v_mad_u64_u32 v[16:17], s[4:5], v2, 48, s[8:9]
	v_add_f64 v[4:5], v[42:43], v[0:1]
	v_add_f64 v[6:7], v[6:7], v[44:45]
	v_mov_b32_e32 v0, v17
	v_mad_u64_u32 v[0:1], s[4:5], v3, 48, v[0:1]
	v_mov_b32_e32 v17, v0
	global_store_dwordx4 v[54:55], v[4:7], off offset:32
	global_load_dwordx4 v[0:3], v[16:17], off offset:32
	global_load_dwordx4 v[12:15], v[16:17], off offset:16
	s_nop 0
	global_load_dwordx4 v[16:19], v[16:17], off
	s_waitcnt vmcnt(0)
	v_mul_f64 v[28:29], v[10:11], v[18:19]
	v_fma_f64 v[28:29], v[8:9], v[16:17], -v[28:29]
	v_mul_f64 v[8:9], v[8:9], v[18:19]
	v_add_f64 v[42:43], v[28:29], 0
	v_fma_f64 v[8:9], v[16:17], v[10:11], v[8:9]
	v_add_f64 v[44:45], v[8:9], 0
	global_load_dwordx4 v[8:11], v[36:37], off offset:496
	global_load_dwordx4 v[28:31], v[36:37], off offset:480
	;; [unrolled: 1-line block ×4, first 2 shown]
	s_waitcnt vmcnt(0)
	v_mul_f64 v[46:47], v[40:41], v[14:15]
	v_fma_f64 v[46:47], v[38:39], v[12:13], -v[46:47]
	v_mul_f64 v[38:39], v[38:39], v[14:15]
	v_add_f64 v[42:43], v[42:43], v[46:47]
	v_fma_f64 v[38:39], v[12:13], v[40:41], v[38:39]
	v_mul_f64 v[40:41], v[34:35], v[2:3]
	v_add_f64 v[38:39], v[44:45], v[38:39]
	v_fma_f64 v[40:41], v[32:33], v[0:1], -v[40:41]
	v_mul_f64 v[32:33], v[32:33], v[2:3]
	v_add_f64 v[40:41], v[42:43], v[40:41]
	v_fma_f64 v[32:33], v[0:1], v[34:35], v[32:33]
	v_add_f64 v[20:21], v[20:21], v[40:41]
	v_add_f64 v[32:33], v[38:39], v[32:33]
	;; [unrolled: 1-line block ×3, first 2 shown]
	global_store_dwordx4 v[54:55], v[20:23], off
	s_nop 0
	v_mul_f64 v[20:21], v[18:19], v[30:31]
	v_mul_f64 v[22:23], v[16:17], v[30:31]
	v_fma_f64 v[20:21], v[16:17], v[28:29], -v[20:21]
	v_fma_f64 v[22:23], v[18:19], v[28:29], v[22:23]
	v_mul_f64 v[28:29], v[14:15], v[10:11]
	v_mul_f64 v[10:11], v[12:13], v[10:11]
	v_add_f64 v[20:21], v[20:21], 0
	v_add_f64 v[22:23], v[22:23], 0
	v_fma_f64 v[28:29], v[12:13], v[8:9], -v[28:29]
	v_fma_f64 v[8:9], v[14:15], v[8:9], v[10:11]
	v_add_f64 v[38:39], v[20:21], v[28:29]
	v_add_f64 v[40:41], v[22:23], v[8:9]
	global_load_dwordx4 v[8:11], v[36:37], off offset:560
	global_load_dwordx4 v[20:23], v[36:37], off offset:544
	;; [unrolled: 1-line block ×4, first 2 shown]
	s_waitcnt vmcnt(0)
	v_mul_f64 v[36:37], v[2:3], v[34:35]
	v_mul_f64 v[34:35], v[0:1], v[34:35]
	v_fma_f64 v[36:37], v[0:1], v[32:33], -v[36:37]
	v_fma_f64 v[32:33], v[2:3], v[32:33], v[34:35]
	v_add_f64 v[36:37], v[38:39], v[36:37]
	v_add_f64 v[32:33], v[40:41], v[32:33]
	;; [unrolled: 1-line block ×4, first 2 shown]
	global_store_dwordx4 v[54:55], v[24:27], off offset:16
	s_nop 0
	v_mul_f64 v[24:25], v[18:19], v[30:31]
	v_fma_f64 v[24:25], v[16:17], v[28:29], -v[24:25]
	v_mul_f64 v[16:17], v[16:17], v[30:31]
	v_add_f64 v[24:25], v[24:25], 0
	v_fma_f64 v[16:17], v[18:19], v[28:29], v[16:17]
	v_mul_f64 v[18:19], v[14:15], v[22:23]
	v_add_f64 v[16:17], v[16:17], 0
	v_fma_f64 v[18:19], v[12:13], v[20:21], -v[18:19]
	v_mul_f64 v[12:13], v[12:13], v[22:23]
	v_add_f64 v[18:19], v[24:25], v[18:19]
	v_fma_f64 v[12:13], v[14:15], v[20:21], v[12:13]
	v_mul_f64 v[14:15], v[2:3], v[10:11]
	v_add_f64 v[12:13], v[16:17], v[12:13]
	v_fma_f64 v[14:15], v[0:1], v[8:9], -v[14:15]
	v_mul_f64 v[0:1], v[0:1], v[10:11]
	v_add_f64 v[14:15], v[18:19], v[14:15]
	v_fma_f64 v[0:1], v[2:3], v[8:9], v[0:1]
	v_add_f64 v[50:51], v[4:5], v[14:15]
	v_add_f64 v[0:1], v[12:13], v[0:1]
	;; [unrolled: 1-line block ×3, first 2 shown]
	v_mov_b32_e32 v0, s19
	v_mov_b32_e32 v1, s1
	global_store_dwordx4 v[54:55], v[50:53], off offset:32
	buffer_store_dword v56, off, s[24:27], 0 offset:8 ; 4-byte Folded Spill
	s_nop 0
	buffer_store_dword v57, off, s[24:27], 0 offset:12 ; 4-byte Folded Spill
	v_mov_b32_e32 v50, v58
	v_mov_b32_e32 v51, v59
	v_add_co_u32_e32 v40, vcc, s18, v56
	v_addc_co_u32_e32 v41, vcc, v0, v57, vcc
	v_add_co_u32_e32 v0, vcc, s0, v58
	v_addc_co_u32_e32 v1, vcc, v1, v59, vcc
	global_load_dwordx4 v[6:9], v[0:1], off offset:16
	global_load_dwordx4 v[16:19], v[0:1], off
	s_waitcnt vmcnt(0)
	v_mad_u64_u32 v[4:5], s[0:1], v16, 48, s[8:9]
	v_mov_b32_e32 v0, v5
	v_mad_u64_u32 v[0:1], s[0:1], v17, 48, v[0:1]
	v_mov_b32_e32 v5, v0
	global_load_dwordx4 v[0:3], v[40:41], off offset:48
	global_load_dwordx4 v[10:13], v[40:41], off offset:32
	global_load_dwordx4 v[14:17], v[40:41], off offset:16
	global_load_dwordx4 v[20:23], v[40:41], off
	global_load_dwordx4 v[24:27], v[4:5], off offset:32
	global_load_dwordx4 v[28:31], v[4:5], off offset:16
	global_load_dwordx4 v[44:47], v[4:5], off
	s_waitcnt vmcnt(0)
	v_mul_f64 v[4:5], v[22:23], v[46:47]
	v_fma_f64 v[4:5], v[20:21], v[44:45], -v[4:5]
	v_mul_f64 v[20:21], v[20:21], v[46:47]
	v_add_f64 v[4:5], v[4:5], 0
	v_fma_f64 v[20:21], v[44:45], v[22:23], v[20:21]
	v_mul_f64 v[22:23], v[16:17], v[30:31]
	v_add_f64 v[20:21], v[20:21], 0
	v_fma_f64 v[22:23], v[14:15], v[28:29], -v[22:23]
	v_mul_f64 v[14:15], v[14:15], v[30:31]
	v_add_f64 v[4:5], v[4:5], v[22:23]
	v_fma_f64 v[14:15], v[28:29], v[16:17], v[14:15]
	v_mul_f64 v[16:17], v[12:13], v[26:27]
	v_add_f64 v[14:15], v[20:21], v[14:15]
	v_fma_f64 v[16:17], v[10:11], v[24:25], -v[16:17]
	v_add_f64 v[38:39], v[4:5], v[16:17]
	v_mul_f64 v[4:5], v[10:11], v[26:27]
	v_fma_f64 v[4:5], v[24:25], v[12:13], v[4:5]
	v_add_f64 v[42:43], v[14:15], v[4:5]
	v_mul_f64 v[4:5], v[46:47], v[2:3]
	v_mul_f64 v[2:3], v[44:45], v[2:3]
	v_fma_f64 v[4:5], v[44:45], v[0:1], -v[4:5]
	v_fma_f64 v[0:1], v[46:47], v[0:1], v[2:3]
	v_add_f64 v[4:5], v[4:5], 0
	v_add_f64 v[32:33], v[0:1], 0
	global_load_dwordx4 v[0:3], v[40:41], off offset:112
	global_load_dwordx4 v[10:13], v[40:41], off offset:96
	;; [unrolled: 1-line block ×4, first 2 shown]
	s_waitcnt vmcnt(0)
	v_mul_f64 v[34:35], v[30:31], v[22:23]
	v_mul_f64 v[22:23], v[28:29], v[22:23]
	v_fma_f64 v[34:35], v[28:29], v[20:21], -v[34:35]
	v_fma_f64 v[20:21], v[30:31], v[20:21], v[22:23]
	v_mul_f64 v[22:23], v[26:27], v[16:17]
	v_add_f64 v[4:5], v[4:5], v[34:35]
	v_add_f64 v[20:21], v[32:33], v[20:21]
	v_fma_f64 v[22:23], v[24:25], v[14:15], -v[22:23]
	v_add_f64 v[34:35], v[4:5], v[22:23]
	v_mul_f64 v[4:5], v[24:25], v[16:17]
	v_fma_f64 v[4:5], v[26:27], v[14:15], v[4:5]
	v_add_f64 v[36:37], v[20:21], v[4:5]
	v_mul_f64 v[4:5], v[46:47], v[12:13]
	v_mul_f64 v[12:13], v[44:45], v[12:13]
	v_fma_f64 v[4:5], v[44:45], v[10:11], -v[4:5]
	v_fma_f64 v[10:11], v[46:47], v[10:11], v[12:13]
	v_mul_f64 v[12:13], v[30:31], v[2:3]
	v_mul_f64 v[2:3], v[28:29], v[2:3]
	v_add_f64 v[4:5], v[4:5], 0
	v_add_f64 v[10:11], v[10:11], 0
	v_fma_f64 v[12:13], v[28:29], v[0:1], -v[12:13]
	v_fma_f64 v[0:1], v[30:31], v[0:1], v[2:3]
	v_add_f64 v[4:5], v[4:5], v[12:13]
	v_add_f64 v[28:29], v[10:11], v[0:1]
	global_load_dwordx4 v[0:3], v[40:41], off offset:176
	global_load_dwordx4 v[10:13], v[40:41], off offset:160
	;; [unrolled: 1-line block ×4, first 2 shown]
	s_waitcnt vmcnt(0)
	v_mul_f64 v[30:31], v[26:27], v[22:23]
	v_fma_f64 v[30:31], v[24:25], v[20:21], -v[30:31]
	v_add_f64 v[30:31], v[4:5], v[30:31]
	v_mul_f64 v[4:5], v[24:25], v[22:23]
	v_fma_f64 v[4:5], v[26:27], v[20:21], v[4:5]
	v_add_f64 v[32:33], v[28:29], v[4:5]
	v_mad_u64_u32 v[4:5], s[0:1], v18, 48, s[8:9]
	v_mad_u64_u32 v[18:19], s[0:1], v19, 48, v[5:6]
	v_mov_b32_e32 v5, v18
	global_load_dwordx4 v[18:21], v[4:5], off offset:32
	global_load_dwordx4 v[22:25], v[4:5], off offset:16
	global_load_dwordx4 v[26:29], v[4:5], off
	s_waitcnt vmcnt(0)
	v_mul_f64 v[4:5], v[16:17], v[28:29]
	v_fma_f64 v[4:5], v[14:15], v[26:27], -v[4:5]
	v_mul_f64 v[14:15], v[14:15], v[28:29]
	v_add_f64 v[4:5], v[4:5], 0
	v_fma_f64 v[14:15], v[26:27], v[16:17], v[14:15]
	v_mul_f64 v[16:17], v[12:13], v[24:25]
	v_add_f64 v[14:15], v[14:15], 0
	v_fma_f64 v[16:17], v[10:11], v[22:23], -v[16:17]
	v_mul_f64 v[10:11], v[10:11], v[24:25]
	v_add_f64 v[4:5], v[4:5], v[16:17]
	v_fma_f64 v[10:11], v[22:23], v[12:13], v[10:11]
	v_mul_f64 v[12:13], v[2:3], v[20:21]
	v_add_f64 v[10:11], v[14:15], v[10:11]
	v_fma_f64 v[12:13], v[0:1], v[18:19], -v[12:13]
	v_mul_f64 v[0:1], v[0:1], v[20:21]
	v_add_f64 v[4:5], v[4:5], v[12:13]
	v_fma_f64 v[0:1], v[18:19], v[2:3], v[0:1]
	v_add_f64 v[14:15], v[38:39], v[4:5]
	v_add_f64 v[0:1], v[10:11], v[0:1]
	;; [unrolled: 1-line block ×3, first 2 shown]
	global_load_dwordx4 v[0:3], v[40:41], off offset:240
	global_load_dwordx4 v[10:13], v[40:41], off offset:224
	;; [unrolled: 1-line block ×4, first 2 shown]
	s_waitcnt vmcnt(0)
	v_mul_f64 v[4:5], v[28:29], v[48:49]
	v_mul_f64 v[38:39], v[26:27], v[48:49]
	v_fma_f64 v[4:5], v[26:27], v[46:47], -v[4:5]
	v_fma_f64 v[38:39], v[28:29], v[46:47], v[38:39]
	v_mul_f64 v[46:47], v[24:25], v[44:45]
	v_mul_f64 v[44:45], v[22:23], v[44:45]
	v_add_f64 v[4:5], v[4:5], 0
	v_add_f64 v[38:39], v[38:39], 0
	v_fma_f64 v[46:47], v[22:23], v[42:43], -v[46:47]
	v_fma_f64 v[42:43], v[24:25], v[42:43], v[44:45]
	v_add_f64 v[4:5], v[4:5], v[46:47]
	v_add_f64 v[38:39], v[38:39], v[42:43]
	v_mul_f64 v[42:43], v[20:21], v[12:13]
	v_mul_f64 v[12:13], v[18:19], v[12:13]
	v_fma_f64 v[42:43], v[18:19], v[10:11], -v[42:43]
	v_fma_f64 v[10:11], v[20:21], v[10:11], v[12:13]
	v_add_f64 v[4:5], v[4:5], v[42:43]
	v_add_f64 v[10:11], v[38:39], v[10:11]
	;; [unrolled: 1-line block ×3, first 2 shown]
	v_mul_f64 v[4:5], v[28:29], v[2:3]
	v_mul_f64 v[2:3], v[26:27], v[2:3]
	v_add_f64 v[36:37], v[36:37], v[10:11]
	v_fma_f64 v[4:5], v[26:27], v[0:1], -v[4:5]
	v_fma_f64 v[0:1], v[28:29], v[0:1], v[2:3]
	v_add_f64 v[4:5], v[4:5], 0
	v_add_f64 v[38:39], v[0:1], 0
	global_load_dwordx4 v[0:3], v[40:41], off offset:304
	global_load_dwordx4 v[10:13], v[40:41], off offset:288
	;; [unrolled: 1-line block ×4, first 2 shown]
	s_waitcnt vmcnt(0)
	v_mul_f64 v[46:47], v[24:25], v[44:45]
	v_fma_f64 v[46:47], v[22:23], v[42:43], -v[46:47]
	v_mul_f64 v[22:23], v[22:23], v[44:45]
	v_add_f64 v[4:5], v[4:5], v[46:47]
	v_fma_f64 v[22:23], v[24:25], v[42:43], v[22:23]
	v_mul_f64 v[24:25], v[20:21], v[28:29]
	v_add_f64 v[22:23], v[38:39], v[22:23]
	v_fma_f64 v[24:25], v[18:19], v[26:27], -v[24:25]
	v_mul_f64 v[18:19], v[18:19], v[28:29]
	v_add_f64 v[4:5], v[4:5], v[24:25]
	v_fma_f64 v[18:19], v[20:21], v[26:27], v[18:19]
	v_add_f64 v[4:5], v[30:31], v[4:5]
	v_add_f64 v[18:19], v[22:23], v[18:19]
	v_mad_u64_u32 v[22:23], s[0:1], v6, 48, s[8:9]
	v_mov_b32_e32 v6, v23
	v_mad_u64_u32 v[6:7], s[0:1], v7, 48, v[6:7]
	v_add_f64 v[38:39], v[32:33], v[18:19]
	v_mov_b32_e32 v23, v6
	global_load_dwordx4 v[18:21], v[22:23], off offset:32
	global_load_dwordx4 v[28:31], v[22:23], off offset:16
	global_load_dwordx4 v[42:45], v[22:23], off
	s_waitcnt vmcnt(0)
	v_mul_f64 v[6:7], v[12:13], v[44:45]
	v_fma_f64 v[6:7], v[10:11], v[42:43], -v[6:7]
	v_mul_f64 v[10:11], v[10:11], v[44:45]
	v_add_f64 v[6:7], v[6:7], 0
	v_fma_f64 v[10:11], v[42:43], v[12:13], v[10:11]
	v_mul_f64 v[12:13], v[2:3], v[30:31]
	v_add_f64 v[10:11], v[10:11], 0
	v_fma_f64 v[12:13], v[0:1], v[28:29], -v[12:13]
	v_mul_f64 v[0:1], v[0:1], v[30:31]
	v_add_f64 v[6:7], v[6:7], v[12:13]
	v_fma_f64 v[0:1], v[28:29], v[2:3], v[0:1]
	v_add_f64 v[26:27], v[10:11], v[0:1]
	global_load_dwordx4 v[0:3], v[40:41], off offset:368
	global_load_dwordx4 v[22:25], v[40:41], off offset:352
	;; [unrolled: 1-line block ×4, first 2 shown]
	s_waitcnt vmcnt(0)
	v_mul_f64 v[32:33], v[12:13], v[20:21]
	v_fma_f64 v[32:33], v[10:11], v[18:19], -v[32:33]
	v_mul_f64 v[10:11], v[10:11], v[20:21]
	v_add_f64 v[6:7], v[6:7], v[32:33]
	v_fma_f64 v[10:11], v[18:19], v[12:13], v[10:11]
	v_mul_f64 v[12:13], v[30:31], v[24:25]
	v_add_f64 v[6:7], v[14:15], v[6:7]
	buffer_store_dword v6, off, s[24:27], 0 offset:24 ; 4-byte Folded Spill
	s_nop 0
	buffer_store_dword v7, off, s[24:27], 0 offset:28 ; 4-byte Folded Spill
	v_mul_f64 v[6:7], v[44:45], v[48:49]
	v_add_f64 v[10:11], v[26:27], v[10:11]
	v_fma_f64 v[12:13], v[28:29], v[22:23], -v[12:13]
	v_fma_f64 v[6:7], v[42:43], v[46:47], -v[6:7]
	v_add_f64 v[56:57], v[16:17], v[10:11]
	v_mul_f64 v[10:11], v[42:43], v[48:49]
	v_add_f64 v[6:7], v[6:7], 0
	v_fma_f64 v[10:11], v[44:45], v[46:47], v[10:11]
	v_add_f64 v[6:7], v[6:7], v[12:13]
	v_mul_f64 v[12:13], v[28:29], v[24:25]
	v_add_f64 v[10:11], v[10:11], 0
	v_fma_f64 v[12:13], v[30:31], v[22:23], v[12:13]
	v_add_f64 v[10:11], v[10:11], v[12:13]
	v_mul_f64 v[12:13], v[20:21], v[2:3]
	v_mul_f64 v[2:3], v[18:19], v[2:3]
	v_fma_f64 v[12:13], v[18:19], v[0:1], -v[12:13]
	v_fma_f64 v[0:1], v[20:21], v[0:1], v[2:3]
	v_add_f64 v[6:7], v[6:7], v[12:13]
	v_add_f64 v[0:1], v[10:11], v[0:1]
	;; [unrolled: 1-line block ×4, first 2 shown]
	global_load_dwordx4 v[24:27], v[40:41], off offset:432
	global_load_dwordx4 v[0:3], v[40:41], off offset:416
	;; [unrolled: 1-line block ×4, first 2 shown]
	s_waitcnt vmcnt(1)
	v_mul_f64 v[16:17], v[30:31], v[14:15]
	s_waitcnt vmcnt(0)
	v_mul_f64 v[10:11], v[42:43], v[34:35]
	v_mul_f64 v[14:15], v[28:29], v[14:15]
	;; [unrolled: 1-line block ×3, first 2 shown]
	v_fma_f64 v[16:17], v[28:29], v[12:13], -v[16:17]
	v_fma_f64 v[10:11], v[44:45], v[32:33], v[10:11]
	v_fma_f64 v[12:13], v[30:31], v[12:13], v[14:15]
	v_fma_f64 v[6:7], v[42:43], v[32:33], -v[6:7]
	v_add_f64 v[10:11], v[10:11], 0
	v_add_f64 v[6:7], v[6:7], 0
	;; [unrolled: 1-line block ×3, first 2 shown]
	v_mul_f64 v[12:13], v[20:21], v[2:3]
	v_mul_f64 v[2:3], v[18:19], v[2:3]
	v_add_f64 v[6:7], v[6:7], v[16:17]
	v_fma_f64 v[12:13], v[18:19], v[0:1], -v[12:13]
	v_fma_f64 v[0:1], v[20:21], v[0:1], v[2:3]
	v_add_f64 v[6:7], v[6:7], v[12:13]
	v_add_f64 v[0:1], v[10:11], v[0:1]
	;; [unrolled: 1-line block ×4, first 2 shown]
	v_mov_b32_e32 v1, v50
	v_mov_b32_e32 v2, v51
	buffer_store_dword v1, off, s[24:27], 0 offset:16 ; 4-byte Folded Spill
	s_nop 0
	buffer_store_dword v2, off, s[24:27], 0 offset:20 ; 4-byte Folded Spill
	v_add_co_u32_e32 v0, vcc, s14, v1
	v_mov_b32_e32 v1, s15
	v_addc_co_u32_e32 v1, vcc, v1, v2, vcc
	global_load_dwordx4 v[2:5], v[0:1], off offset:16
	s_waitcnt vmcnt(0)
	buffer_store_dword v2, off, s[24:27], 0 offset:40 ; 4-byte Folded Spill
	s_nop 0
	buffer_store_dword v3, off, s[24:27], 0 offset:44 ; 4-byte Folded Spill
	buffer_store_dword v4, off, s[24:27], 0 offset:48 ; 4-byte Folded Spill
	;; [unrolled: 1-line block ×3, first 2 shown]
	global_load_dwordx4 v[20:23], v[0:1], off
	s_nop 0
	buffer_store_dword v54, off, s[24:27], 0 ; 4-byte Folded Spill
	s_nop 0
	buffer_store_dword v55, off, s[24:27], 0 offset:4 ; 4-byte Folded Spill
	global_load_dwordx2 v[0:1], v[54:55], off offset:32
	s_waitcnt vmcnt(0)
	buffer_store_dword v0, off, s[24:27], 0 offset:56 ; 4-byte Folded Spill
	s_nop 0
	buffer_store_dword v1, off, s[24:27], 0 offset:60 ; 4-byte Folded Spill
	v_mad_u64_u32 v[0:1], s[0:1], v8, 48, s[8:9]
	global_load_dwordx4 v[48:51], v[54:55], off offset:16
	global_load_dwordx4 v[16:19], v[54:55], off
	v_mad_u64_u32 v[1:2], s[0:1], v9, 48, v[1:2]
	global_load_dwordx4 v[8:11], v[0:1], off offset:32
	global_load_dwordx4 v[28:31], v[0:1], off offset:16
	global_load_dwordx4 v[32:35], v[0:1], off
	global_load_dwordx4 v[4:7], v[40:41], off offset:560
	global_load_dwordx4 v[36:39], v[40:41], off offset:544
	s_nop 0
	global_load_dwordx4 v[0:3], v[40:41], off offset:528
	global_load_dwordx4 v[44:47], v[40:41], off offset:512
	s_waitcnt vmcnt(2)
	v_mul_f64 v[14:15], v[28:29], v[38:39]
	s_waitcnt vmcnt(1)
	v_mul_f64 v[12:13], v[32:33], v[2:3]
	v_mul_f64 v[2:3], v[34:35], v[2:3]
	v_fma_f64 v[14:15], v[30:31], v[36:37], v[14:15]
	v_fma_f64 v[12:13], v[34:35], v[0:1], v[12:13]
	v_fma_f64 v[0:1], v[32:33], v[0:1], -v[2:3]
	v_mul_f64 v[2:3], v[30:31], v[38:39]
	v_add_f64 v[12:13], v[12:13], 0
	v_add_f64 v[0:1], v[0:1], 0
	v_fma_f64 v[2:3], v[28:29], v[36:37], -v[2:3]
	v_add_f64 v[12:13], v[12:13], v[14:15]
	v_mul_f64 v[14:15], v[8:9], v[6:7]
	v_add_f64 v[0:1], v[0:1], v[2:3]
	v_mul_f64 v[2:3], v[10:11], v[6:7]
	v_fma_f64 v[14:15], v[10:11], v[4:5], v[14:15]
	v_fma_f64 v[2:3], v[8:9], v[4:5], -v[2:3]
	v_add_f64 v[12:13], v[12:13], v[14:15]
	v_add_f64 v[0:1], v[0:1], v[2:3]
	;; [unrolled: 1-line block ×4, first 2 shown]
	global_load_dwordx4 v[4:7], v[40:41], off offset:496
	global_load_dwordx4 v[0:3], v[40:41], off offset:480
	;; [unrolled: 1-line block ×3, first 2 shown]
	s_nop 0
	global_load_dwordx4 v[40:43], v[40:41], off offset:448
	s_waitcnt vmcnt(3)
	v_mul_f64 v[54:55], v[28:29], v[6:7]
	s_waitcnt vmcnt(2)
	v_mul_f64 v[14:15], v[32:33], v[2:3]
	v_mul_f64 v[2:3], v[34:35], v[2:3]
	v_fma_f64 v[54:55], v[30:31], v[4:5], v[54:55]
	v_fma_f64 v[14:15], v[34:35], v[0:1], v[14:15]
	v_fma_f64 v[0:1], v[32:33], v[0:1], -v[2:3]
	v_mul_f64 v[2:3], v[30:31], v[6:7]
	v_add_f64 v[14:15], v[14:15], 0
	v_add_f64 v[0:1], v[0:1], 0
	v_fma_f64 v[2:3], v[28:29], v[4:5], -v[2:3]
	s_waitcnt vmcnt(0)
	v_mul_f64 v[4:5], v[42:43], v[30:31]
	v_add_f64 v[14:15], v[14:15], v[54:55]
	v_mul_f64 v[54:55], v[8:9], v[46:47]
	v_add_f64 v[0:1], v[0:1], v[2:3]
	v_mul_f64 v[2:3], v[10:11], v[46:47]
	v_fma_f64 v[4:5], v[40:41], v[28:29], -v[4:5]
	v_fma_f64 v[54:55], v[10:11], v[44:45], v[54:55]
	v_fma_f64 v[2:3], v[8:9], v[44:45], -v[2:3]
	v_add_f64 v[14:15], v[14:15], v[54:55]
	v_add_f64 v[0:1], v[0:1], v[2:3]
	v_mul_f64 v[2:3], v[40:41], v[30:31]
	v_add_f64 v[14:15], v[60:61], v[14:15]
	v_add_f64 v[44:45], v[58:59], v[0:1]
	v_mul_f64 v[0:1], v[24:25], v[34:35]
	v_fma_f64 v[2:3], v[28:29], v[42:43], v[2:3]
	v_fma_f64 v[0:1], v[32:33], v[26:27], v[0:1]
	v_add_f64 v[0:1], v[0:1], 0
	v_add_f64 v[0:1], v[0:1], v[2:3]
	v_mul_f64 v[2:3], v[36:37], v[10:11]
	v_fma_f64 v[2:3], v[8:9], v[38:39], v[2:3]
	v_add_f64 v[0:1], v[0:1], v[2:3]
	v_mul_f64 v[2:3], v[26:27], v[34:35]
	v_add_f64 v[0:1], v[56:57], v[0:1]
	v_fma_f64 v[2:3], v[24:25], v[32:33], -v[2:3]
	v_add_f64 v[2:3], v[2:3], 0
	v_add_f64 v[2:3], v[2:3], v[4:5]
	v_mul_f64 v[4:5], v[38:39], v[10:11]
	v_add_f64 v[10:11], v[14:15], v[50:51]
	v_fma_f64 v[4:5], v[36:37], v[8:9], -v[4:5]
	v_add_f64 v[8:9], v[44:45], v[48:49]
	v_mad_u64_u32 v[36:37], s[0:1], v20, 48, s[8:9]
	v_add_f64 v[2:3], v[2:3], v[4:5]
	buffer_load_dword v4, off, s[24:27], 0 offset:24 ; 4-byte Folded Reload
	buffer_load_dword v5, off, s[24:27], 0 offset:28 ; 4-byte Folded Reload
	s_waitcnt vmcnt(0)
	v_add_f64 v[2:3], v[4:5], v[2:3]
	v_add_f64 v[4:5], v[0:1], v[18:19]
	v_add_f64 v[18:19], v[62:63], v[52:53]
	v_add_f64 v[2:3], v[2:3], v[16:17]
	buffer_store_dword v2, off, s[24:27], 0 offset:24 ; 4-byte Folded Spill
	s_nop 0
	buffer_store_dword v3, off, s[24:27], 0 offset:28 ; 4-byte Folded Spill
	buffer_store_dword v4, off, s[24:27], 0 offset:32 ; 4-byte Folded Spill
	;; [unrolled: 1-line block ×3, first 2 shown]
	buffer_load_dword v0, off, s[24:27], 0  ; 4-byte Folded Reload
	buffer_load_dword v1, off, s[24:27], 0 offset:4 ; 4-byte Folded Reload
	s_waitcnt vmcnt(0)
	global_store_dwordx4 v[0:1], v[2:5], off
	global_store_dwordx4 v[0:1], v[8:11], off offset:16
	buffer_load_dword v2, off, s[24:27], 0 offset:56 ; 4-byte Folded Reload
	s_nop 0
	buffer_load_dword v3, off, s[24:27], 0 offset:60 ; 4-byte Folded Reload
	s_waitcnt vmcnt(0)
	v_add_f64 v[16:17], v[12:13], v[2:3]
	global_store_dwordx4 v[0:1], v[16:19], off offset:32
	buffer_load_dword v0, off, s[24:27], 0 offset:8 ; 4-byte Folded Reload
	s_nop 0
	buffer_load_dword v1, off, s[24:27], 0 offset:12 ; 4-byte Folded Reload
	s_waitcnt vmcnt(1)
	v_add_co_u32_e32 v40, vcc, s20, v0
	v_mov_b32_e32 v0, s21
	s_waitcnt vmcnt(0)
	v_addc_co_u32_e32 v41, vcc, v0, v1, vcc
	v_mov_b32_e32 v0, v37
	v_mad_u64_u32 v[0:1], s[0:1], v21, 48, v[0:1]
	v_mov_b32_e32 v37, v0
	global_load_dwordx4 v[0:3], v[40:41], off offset:48
	global_load_dwordx4 v[4:7], v[40:41], off offset:32
	;; [unrolled: 1-line block ×3, first 2 shown]
	global_load_dwordx4 v[24:27], v[40:41], off
	global_load_dwordx4 v[32:35], v[36:37], off offset:32
	global_load_dwordx4 v[28:31], v[36:37], off offset:16
	s_nop 0
	global_load_dwordx4 v[36:39], v[36:37], off
	s_waitcnt vmcnt(0)
	v_mul_f64 v[20:21], v[26:27], v[38:39]
	v_fma_f64 v[20:21], v[24:25], v[36:37], -v[20:21]
	v_mul_f64 v[24:25], v[24:25], v[38:39]
	v_add_f64 v[20:21], v[20:21], 0
	v_fma_f64 v[24:25], v[36:37], v[26:27], v[24:25]
	v_mul_f64 v[26:27], v[14:15], v[30:31]
	v_add_f64 v[24:25], v[24:25], 0
	v_fma_f64 v[26:27], v[12:13], v[28:29], -v[26:27]
	v_mul_f64 v[12:13], v[12:13], v[30:31]
	v_add_f64 v[20:21], v[20:21], v[26:27]
	v_fma_f64 v[12:13], v[28:29], v[14:15], v[12:13]
	v_mul_f64 v[14:15], v[6:7], v[34:35]
	v_add_f64 v[12:13], v[24:25], v[12:13]
	v_fma_f64 v[14:15], v[4:5], v[32:33], -v[14:15]
	v_mul_f64 v[4:5], v[4:5], v[34:35]
	v_add_f64 v[56:57], v[20:21], v[14:15]
	v_fma_f64 v[4:5], v[32:33], v[6:7], v[4:5]
	v_add_f64 v[58:59], v[12:13], v[4:5]
	v_mul_f64 v[4:5], v[38:39], v[2:3]
	v_mul_f64 v[2:3], v[36:37], v[2:3]
	v_fma_f64 v[4:5], v[36:37], v[0:1], -v[4:5]
	v_fma_f64 v[0:1], v[38:39], v[0:1], v[2:3]
	v_add_f64 v[20:21], v[4:5], 0
	v_add_f64 v[42:43], v[0:1], 0
	global_load_dwordx4 v[0:3], v[40:41], off offset:112
	global_load_dwordx4 v[4:7], v[40:41], off offset:96
	;; [unrolled: 1-line block ×4, first 2 shown]
	s_waitcnt vmcnt(0)
	v_mul_f64 v[44:45], v[30:31], v[26:27]
	v_mul_f64 v[26:27], v[28:29], v[26:27]
	v_fma_f64 v[44:45], v[28:29], v[24:25], -v[44:45]
	v_fma_f64 v[24:25], v[30:31], v[24:25], v[26:27]
	v_mul_f64 v[26:27], v[34:35], v[14:15]
	v_mul_f64 v[14:15], v[32:33], v[14:15]
	v_add_f64 v[20:21], v[20:21], v[44:45]
	v_add_f64 v[24:25], v[42:43], v[24:25]
	v_fma_f64 v[26:27], v[32:33], v[12:13], -v[26:27]
	v_fma_f64 v[12:13], v[34:35], v[12:13], v[14:15]
	v_add_f64 v[46:47], v[20:21], v[26:27]
	v_add_f64 v[54:55], v[24:25], v[12:13]
	v_mul_f64 v[12:13], v[38:39], v[6:7]
	v_mul_f64 v[6:7], v[36:37], v[6:7]
	v_fma_f64 v[12:13], v[36:37], v[4:5], -v[12:13]
	v_fma_f64 v[4:5], v[38:39], v[4:5], v[6:7]
	v_mul_f64 v[6:7], v[30:31], v[2:3]
	v_mul_f64 v[2:3], v[28:29], v[2:3]
	v_add_f64 v[12:13], v[12:13], 0
	v_add_f64 v[4:5], v[4:5], 0
	v_fma_f64 v[6:7], v[28:29], v[0:1], -v[6:7]
	v_fma_f64 v[0:1], v[30:31], v[0:1], v[2:3]
	v_add_f64 v[12:13], v[12:13], v[6:7]
	v_add_f64 v[14:15], v[4:5], v[0:1]
	global_load_dwordx4 v[4:7], v[40:41], off offset:176
	global_load_dwordx4 v[24:27], v[40:41], off offset:160
	;; [unrolled: 1-line block ×4, first 2 shown]
	s_waitcnt vmcnt(0)
	v_mul_f64 v[20:21], v[34:35], v[2:3]
	v_mul_f64 v[2:3], v[32:33], v[2:3]
	v_fma_f64 v[20:21], v[32:33], v[0:1], -v[20:21]
	v_fma_f64 v[0:1], v[34:35], v[0:1], v[2:3]
	v_add_f64 v[42:43], v[12:13], v[20:21]
	v_add_f64 v[44:45], v[14:15], v[0:1]
	v_mad_u64_u32 v[0:1], s[0:1], v22, 48, s[8:9]
	v_mad_u64_u32 v[1:2], s[0:1], v23, 48, v[1:2]
	global_load_dwordx4 v[20:23], v[0:1], off offset:32
	global_load_dwordx4 v[32:35], v[0:1], off offset:16
	global_load_dwordx4 v[36:39], v[0:1], off
	s_waitcnt vmcnt(1)
	v_mul_f64 v[12:13], v[26:27], v[34:35]
	s_waitcnt vmcnt(0)
	v_mul_f64 v[0:1], v[30:31], v[38:39]
	v_mul_f64 v[2:3], v[28:29], v[38:39]
	v_fma_f64 v[12:13], v[24:25], v[32:33], -v[12:13]
	v_fma_f64 v[0:1], v[28:29], v[36:37], -v[0:1]
	v_fma_f64 v[2:3], v[36:37], v[30:31], v[2:3]
	v_add_f64 v[0:1], v[0:1], 0
	v_add_f64 v[2:3], v[2:3], 0
	;; [unrolled: 1-line block ×3, first 2 shown]
	v_mul_f64 v[12:13], v[24:25], v[34:35]
	v_fma_f64 v[12:13], v[32:33], v[26:27], v[12:13]
	v_add_f64 v[2:3], v[2:3], v[12:13]
	v_mul_f64 v[12:13], v[6:7], v[22:23]
	v_fma_f64 v[12:13], v[4:5], v[20:21], -v[12:13]
	v_mul_f64 v[4:5], v[4:5], v[22:23]
	v_add_f64 v[0:1], v[0:1], v[12:13]
	v_fma_f64 v[4:5], v[20:21], v[6:7], v[4:5]
	v_add_f64 v[28:29], v[56:57], v[0:1]
	v_add_f64 v[2:3], v[2:3], v[4:5]
	;; [unrolled: 1-line block ×3, first 2 shown]
	global_load_dwordx4 v[4:7], v[40:41], off offset:240
	global_load_dwordx4 v[0:3], v[40:41], off offset:224
	;; [unrolled: 1-line block ×4, first 2 shown]
	s_waitcnt vmcnt(0)
	v_mul_f64 v[48:49], v[38:39], v[26:27]
	v_mul_f64 v[26:27], v[36:37], v[26:27]
	v_fma_f64 v[48:49], v[36:37], v[24:25], -v[48:49]
	v_fma_f64 v[24:25], v[38:39], v[24:25], v[26:27]
	v_mul_f64 v[26:27], v[34:35], v[14:15]
	v_mul_f64 v[14:15], v[32:33], v[14:15]
	v_add_f64 v[48:49], v[48:49], 0
	v_add_f64 v[24:25], v[24:25], 0
	v_fma_f64 v[26:27], v[32:33], v[12:13], -v[26:27]
	v_fma_f64 v[12:13], v[34:35], v[12:13], v[14:15]
	v_mul_f64 v[14:15], v[22:23], v[2:3]
	v_mul_f64 v[2:3], v[20:21], v[2:3]
	v_add_f64 v[26:27], v[48:49], v[26:27]
	v_add_f64 v[12:13], v[24:25], v[12:13]
	v_fma_f64 v[14:15], v[20:21], v[0:1], -v[14:15]
	v_fma_f64 v[0:1], v[22:23], v[0:1], v[2:3]
	v_add_f64 v[14:15], v[26:27], v[14:15]
	v_add_f64 v[2:3], v[12:13], v[0:1]
	v_mul_f64 v[12:13], v[38:39], v[6:7]
	v_mul_f64 v[6:7], v[36:37], v[6:7]
	v_add_f64 v[0:1], v[46:47], v[14:15]
	v_add_f64 v[2:3], v[54:55], v[2:3]
	v_fma_f64 v[12:13], v[36:37], v[4:5], -v[12:13]
	v_fma_f64 v[4:5], v[38:39], v[4:5], v[6:7]
	v_add_f64 v[46:47], v[12:13], 0
	v_add_f64 v[48:49], v[4:5], 0
	global_load_dwordx4 v[4:7], v[40:41], off offset:304
	global_load_dwordx4 v[24:27], v[40:41], off offset:288
	;; [unrolled: 1-line block ×4, first 2 shown]
	buffer_load_dword v54, off, s[24:27], 0 offset:40 ; 4-byte Folded Reload
	buffer_load_dword v55, off, s[24:27], 0 offset:44 ; 4-byte Folded Reload
	buffer_load_dword v56, off, s[24:27], 0 offset:48 ; 4-byte Folded Reload
	buffer_load_dword v57, off, s[24:27], 0 offset:52 ; 4-byte Folded Reload
	s_waitcnt vmcnt(4)
	v_mul_f64 v[50:51], v[34:35], v[38:39]
	v_fma_f64 v[50:51], v[32:33], v[36:37], -v[50:51]
	v_mul_f64 v[32:33], v[32:33], v[38:39]
	v_add_f64 v[46:47], v[46:47], v[50:51]
	v_fma_f64 v[32:33], v[34:35], v[36:37], v[32:33]
	v_mul_f64 v[34:35], v[22:23], v[14:15]
	v_mul_f64 v[14:15], v[20:21], v[14:15]
	v_add_f64 v[32:33], v[48:49], v[32:33]
	v_fma_f64 v[34:35], v[20:21], v[12:13], -v[34:35]
	v_fma_f64 v[12:13], v[22:23], v[12:13], v[14:15]
	v_add_f64 v[34:35], v[46:47], v[34:35]
	v_add_f64 v[12:13], v[32:33], v[12:13]
	s_waitcnt vmcnt(3)
	v_mad_u64_u32 v[32:33], s[0:1], v54, 48, s[8:9]
	v_add_f64 v[46:47], v[42:43], v[34:35]
	v_add_f64 v[48:49], v[44:45], v[12:13]
	v_mov_b32_e32 v12, v33
	s_waitcnt vmcnt(2)
	v_mad_u64_u32 v[12:13], s[0:1], v55, 48, v[12:13]
	v_mov_b32_e32 v33, v12
	global_load_dwordx4 v[12:15], v[32:33], off offset:32
	global_load_dwordx4 v[20:23], v[32:33], off offset:16
	s_nop 0
	global_load_dwordx4 v[32:35], v[32:33], off
	s_waitcnt vmcnt(0)
	v_mul_f64 v[36:37], v[26:27], v[34:35]
	v_fma_f64 v[36:37], v[24:25], v[32:33], -v[36:37]
	v_mul_f64 v[24:25], v[24:25], v[34:35]
	v_add_f64 v[36:37], v[36:37], 0
	v_fma_f64 v[24:25], v[32:33], v[26:27], v[24:25]
	v_mul_f64 v[26:27], v[6:7], v[22:23]
	v_add_f64 v[24:25], v[24:25], 0
	v_fma_f64 v[26:27], v[4:5], v[20:21], -v[26:27]
	v_mul_f64 v[4:5], v[4:5], v[22:23]
	v_add_f64 v[50:51], v[36:37], v[26:27]
	v_fma_f64 v[4:5], v[20:21], v[6:7], v[4:5]
	v_add_f64 v[52:53], v[24:25], v[4:5]
	global_load_dwordx4 v[4:7], v[40:41], off offset:368
	global_load_dwordx4 v[24:27], v[40:41], off offset:352
	;; [unrolled: 1-line block ×4, first 2 shown]
	s_waitcnt vmcnt(0)
	v_mul_f64 v[54:55], v[44:45], v[14:15]
	v_fma_f64 v[54:55], v[42:43], v[12:13], -v[54:55]
	v_mul_f64 v[42:43], v[42:43], v[14:15]
	v_add_f64 v[50:51], v[50:51], v[54:55]
	v_fma_f64 v[42:43], v[12:13], v[44:45], v[42:43]
	v_add_f64 v[28:29], v[28:29], v[50:51]
	v_add_f64 v[42:43], v[52:53], v[42:43]
	buffer_store_dword v28, off, s[24:27], 0 offset:56 ; 4-byte Folded Spill
	s_nop 0
	buffer_store_dword v29, off, s[24:27], 0 offset:60 ; 4-byte Folded Spill
	v_add_f64 v[28:29], v[30:31], v[42:43]
	buffer_store_dword v28, off, s[24:27], 0 offset:64 ; 4-byte Folded Spill
	s_nop 0
	buffer_store_dword v29, off, s[24:27], 0 offset:68 ; 4-byte Folded Spill
	v_mul_f64 v[28:29], v[34:35], v[38:39]
	v_mul_f64 v[30:31], v[32:33], v[38:39]
	v_fma_f64 v[28:29], v[32:33], v[36:37], -v[28:29]
	v_fma_f64 v[30:31], v[34:35], v[36:37], v[30:31]
	v_mul_f64 v[36:37], v[22:23], v[26:27]
	v_mul_f64 v[26:27], v[20:21], v[26:27]
	v_add_f64 v[28:29], v[28:29], 0
	v_add_f64 v[30:31], v[30:31], 0
	v_fma_f64 v[36:37], v[20:21], v[24:25], -v[36:37]
	v_fma_f64 v[24:25], v[22:23], v[24:25], v[26:27]
	v_mul_f64 v[26:27], v[14:15], v[6:7]
	v_mul_f64 v[6:7], v[12:13], v[6:7]
	v_add_f64 v[28:29], v[28:29], v[36:37]
	v_add_f64 v[24:25], v[30:31], v[24:25]
	v_fma_f64 v[26:27], v[12:13], v[4:5], -v[26:27]
	v_fma_f64 v[4:5], v[14:15], v[4:5], v[6:7]
	v_add_f64 v[26:27], v[28:29], v[26:27]
	v_add_f64 v[4:5], v[24:25], v[4:5]
	;; [unrolled: 1-line block ×4, first 2 shown]
	global_load_dwordx4 v[24:27], v[40:41], off offset:432
	global_load_dwordx4 v[0:3], v[40:41], off offset:416
	;; [unrolled: 1-line block ×4, first 2 shown]
	s_waitcnt vmcnt(0)
	v_mul_f64 v[36:37], v[34:35], v[30:31]
	v_mul_f64 v[30:31], v[32:33], v[30:31]
	v_fma_f64 v[36:37], v[32:33], v[28:29], -v[36:37]
	v_fma_f64 v[28:29], v[34:35], v[28:29], v[30:31]
	v_mul_f64 v[30:31], v[22:23], v[6:7]
	v_mul_f64 v[6:7], v[20:21], v[6:7]
	v_add_f64 v[36:37], v[36:37], 0
	v_add_f64 v[28:29], v[28:29], 0
	v_fma_f64 v[30:31], v[20:21], v[4:5], -v[30:31]
	v_fma_f64 v[4:5], v[22:23], v[4:5], v[6:7]
	v_mul_f64 v[6:7], v[14:15], v[2:3]
	v_mul_f64 v[2:3], v[12:13], v[2:3]
	v_add_f64 v[30:31], v[36:37], v[30:31]
	v_add_f64 v[4:5], v[28:29], v[4:5]
	v_fma_f64 v[6:7], v[12:13], v[0:1], -v[6:7]
	v_fma_f64 v[0:1], v[14:15], v[0:1], v[2:3]
	v_mad_u64_u32 v[12:13], s[0:1], v56, 48, s[8:9]
	v_add_f64 v[6:7], v[30:31], v[6:7]
	v_add_f64 v[0:1], v[4:5], v[0:1]
	;; [unrolled: 1-line block ×4, first 2 shown]
	buffer_load_dword v1, off, s[24:27], 0 offset:16 ; 4-byte Folded Reload
	buffer_load_dword v2, off, s[24:27], 0 offset:20 ; 4-byte Folded Reload
	s_waitcnt vmcnt(1)
	v_add_co_u32_e32 v0, vcc, s2, v1
	v_mov_b32_e32 v1, s3
	s_waitcnt vmcnt(0)
	v_addc_co_u32_e32 v1, vcc, v1, v2, vcc
	global_load_dwordx4 v[4:7], v[0:1], off offset:16
	global_load_dwordx4 v[20:23], v[0:1], off
	v_mov_b32_e32 v0, v13
	v_mad_u64_u32 v[0:1], s[0:1], v57, 48, v[0:1]
	v_mov_b32_e32 v13, v0
	global_load_dwordx4 v[0:3], v[12:13], off offset:32
	global_load_dwordx4 v[28:31], v[12:13], off offset:16
	global_load_dwordx4 v[32:35], v[12:13], off
	s_nop 0
	global_load_dwordx4 v[12:15], v[40:41], off offset:560
	global_load_dwordx4 v[48:51], v[40:41], off offset:544
	;; [unrolled: 1-line block ×4, first 2 shown]
	s_waitcnt vmcnt(2)
	v_mul_f64 v[52:53], v[28:29], v[50:51]
	s_waitcnt vmcnt(1)
	v_mul_f64 v[42:43], v[32:33], v[56:57]
	v_fma_f64 v[52:53], v[30:31], v[48:49], v[52:53]
	v_fma_f64 v[42:43], v[34:35], v[54:55], v[42:43]
	v_add_f64 v[42:43], v[42:43], 0
	v_add_f64 v[42:43], v[42:43], v[52:53]
	v_mul_f64 v[52:53], v[0:1], v[14:15]
	v_mul_f64 v[14:15], v[2:3], v[14:15]
	v_fma_f64 v[52:53], v[2:3], v[12:13], v[52:53]
	v_fma_f64 v[12:13], v[0:1], v[12:13], -v[14:15]
	v_add_f64 v[42:43], v[42:43], v[52:53]
	v_add_f64 v[52:53], v[38:39], v[42:43]
	v_mul_f64 v[38:39], v[34:35], v[56:57]
	v_mul_f64 v[42:43], v[30:31], v[50:51]
	v_fma_f64 v[38:39], v[32:33], v[54:55], -v[38:39]
	v_fma_f64 v[42:43], v[28:29], v[48:49], -v[42:43]
	v_add_f64 v[38:39], v[38:39], 0
	v_add_f64 v[38:39], v[38:39], v[42:43]
	;; [unrolled: 1-line block ×4, first 2 shown]
	global_load_dwordx4 v[12:15], v[40:41], off offset:496
	global_load_dwordx4 v[54:57], v[40:41], off offset:480
	;; [unrolled: 1-line block ×3, first 2 shown]
	s_nop 0
	global_load_dwordx4 v[40:43], v[40:41], off offset:448
	s_waitcnt vmcnt(3)
	v_mul_f64 v[62:63], v[28:29], v[14:15]
	s_waitcnt vmcnt(2)
	v_mul_f64 v[50:51], v[32:33], v[56:57]
	v_mul_f64 v[56:57], v[34:35], v[56:57]
	;; [unrolled: 1-line block ×3, first 2 shown]
	v_fma_f64 v[62:63], v[30:31], v[12:13], v[62:63]
	v_fma_f64 v[50:51], v[34:35], v[54:55], v[50:51]
	v_fma_f64 v[54:55], v[32:33], v[54:55], -v[56:57]
	v_fma_f64 v[12:13], v[28:29], v[12:13], -v[14:15]
	v_mul_f64 v[14:15], v[2:3], v[46:47]
	v_add_f64 v[50:51], v[50:51], 0
	v_add_f64 v[54:55], v[54:55], 0
	v_fma_f64 v[14:15], v[0:1], v[44:45], -v[14:15]
	v_add_f64 v[50:51], v[50:51], v[62:63]
	v_add_f64 v[12:13], v[54:55], v[12:13]
	v_mul_f64 v[62:63], v[0:1], v[46:47]
	v_mad_u64_u32 v[46:47], s[0:1], v20, 48, s[8:9]
	v_add_f64 v[12:13], v[12:13], v[14:15]
	v_fma_f64 v[62:63], v[2:3], v[44:45], v[62:63]
	s_waitcnt vmcnt(0)
	v_mul_f64 v[14:15], v[40:41], v[30:31]
	v_add_f64 v[44:45], v[58:59], v[12:13]
	v_mul_f64 v[12:13], v[24:25], v[34:35]
	v_fma_f64 v[14:15], v[28:29], v[42:43], v[14:15]
	v_add_f64 v[50:51], v[50:51], v[62:63]
	v_fma_f64 v[12:13], v[32:33], v[26:27], v[12:13]
	v_add_f64 v[50:51], v[60:61], v[50:51]
	v_add_f64 v[12:13], v[12:13], 0
	;; [unrolled: 1-line block ×3, first 2 shown]
	v_mul_f64 v[14:15], v[36:37], v[2:3]
	v_mul_f64 v[2:3], v[38:39], v[2:3]
	v_fma_f64 v[14:15], v[0:1], v[38:39], v[14:15]
	v_fma_f64 v[0:1], v[36:37], v[0:1], -v[2:3]
	v_add_f64 v[12:13], v[12:13], v[14:15]
	buffer_load_dword v14, off, s[24:27], 0 offset:64 ; 4-byte Folded Reload
	buffer_load_dword v15, off, s[24:27], 0 offset:68 ; 4-byte Folded Reload
	;; [unrolled: 1-line block ×4, first 2 shown]
	s_waitcnt vmcnt(2)
	v_add_f64 v[12:13], v[14:15], v[12:13]
	v_mul_f64 v[14:15], v[26:27], v[34:35]
	v_add_f64 v[34:35], v[10:11], -v[50:51]
	v_fma_f64 v[14:15], v[24:25], v[32:33], -v[14:15]
	v_mul_f64 v[24:25], v[42:43], v[30:31]
	v_add_f64 v[32:33], v[8:9], -v[44:45]
	v_add_f64 v[30:31], v[18:19], -v[52:53]
	v_add_f64 v[14:15], v[14:15], 0
	v_fma_f64 v[24:25], v[40:41], v[28:29], -v[24:25]
	v_add_f64 v[28:29], v[16:17], -v[48:49]
	v_add_f64 v[14:15], v[14:15], v[24:25]
	buffer_load_dword v24, off, s[24:27], 0 offset:24 ; 4-byte Folded Reload
	buffer_load_dword v25, off, s[24:27], 0 offset:28 ; 4-byte Folded Reload
	;; [unrolled: 1-line block ×4, first 2 shown]
	v_add_f64 v[0:1], v[14:15], v[0:1]
	s_waitcnt vmcnt(4)
	v_add_f64 v[0:1], v[2:3], v[0:1]
	s_waitcnt vmcnt(2)
	v_add_f64 v[36:37], v[24:25], -v[0:1]
	buffer_load_dword v0, off, s[24:27], 0 offset:8 ; 4-byte Folded Reload
	buffer_load_dword v1, off, s[24:27], 0 offset:12 ; 4-byte Folded Reload
	s_waitcnt vmcnt(2)
	v_add_f64 v[38:39], v[26:27], -v[12:13]
	s_waitcnt vmcnt(1)
	v_add_co_u32_e32 v44, vcc, s22, v0
	v_mov_b32_e32 v0, s23
	s_waitcnt vmcnt(0)
	v_addc_co_u32_e32 v45, vcc, v0, v1, vcc
	v_mov_b32_e32 v0, v47
	v_mad_u64_u32 v[0:1], s[0:1], v21, 48, v[0:1]
	v_mov_b32_e32 v47, v0
	global_load_dwordx4 v[0:3], v[44:45], off offset:48
	global_load_dwordx4 v[8:11], v[44:45], off offset:32
	;; [unrolled: 1-line block ×3, first 2 shown]
	global_load_dwordx4 v[16:19], v[44:45], off
	global_load_dwordx4 v[24:27], v[46:47], off offset:32
	global_load_dwordx4 v[40:43], v[46:47], off offset:16
	global_load_dwordx4 v[56:59], v[46:47], off
	s_waitcnt vmcnt(0)
	v_mul_f64 v[20:21], v[18:19], v[58:59]
	v_fma_f64 v[20:21], v[16:17], v[56:57], -v[20:21]
	v_mul_f64 v[16:17], v[16:17], v[58:59]
	v_add_f64 v[20:21], v[20:21], 0
	v_fma_f64 v[16:17], v[56:57], v[18:19], v[16:17]
	v_mul_f64 v[18:19], v[14:15], v[42:43]
	v_add_f64 v[16:17], v[16:17], 0
	v_fma_f64 v[18:19], v[12:13], v[40:41], -v[18:19]
	v_mul_f64 v[12:13], v[12:13], v[42:43]
	v_add_f64 v[18:19], v[20:21], v[18:19]
	v_fma_f64 v[12:13], v[40:41], v[14:15], v[12:13]
	v_mul_f64 v[14:15], v[10:11], v[26:27]
	v_add_f64 v[12:13], v[16:17], v[12:13]
	v_fma_f64 v[14:15], v[8:9], v[24:25], -v[14:15]
	v_mul_f64 v[8:9], v[8:9], v[26:27]
	v_add_f64 v[52:53], v[18:19], v[14:15]
	v_fma_f64 v[8:9], v[24:25], v[10:11], v[8:9]
	v_add_f64 v[54:55], v[12:13], v[8:9]
	v_mul_f64 v[8:9], v[58:59], v[2:3]
	v_mul_f64 v[2:3], v[56:57], v[2:3]
	v_fma_f64 v[8:9], v[56:57], v[0:1], -v[8:9]
	v_fma_f64 v[0:1], v[58:59], v[0:1], v[2:3]
	v_add_f64 v[20:21], v[8:9], 0
	v_add_f64 v[46:47], v[0:1], 0
	global_load_dwordx4 v[0:3], v[44:45], off offset:112
	global_load_dwordx4 v[8:11], v[44:45], off offset:96
	;; [unrolled: 1-line block ×4, first 2 shown]
	s_waitcnt vmcnt(0)
	v_mul_f64 v[48:49], v[42:43], v[18:19]
	v_mul_f64 v[18:19], v[40:41], v[18:19]
	v_fma_f64 v[48:49], v[40:41], v[16:17], -v[48:49]
	v_fma_f64 v[16:17], v[42:43], v[16:17], v[18:19]
	v_mul_f64 v[18:19], v[26:27], v[14:15]
	v_mul_f64 v[14:15], v[24:25], v[14:15]
	v_add_f64 v[20:21], v[20:21], v[48:49]
	v_add_f64 v[16:17], v[46:47], v[16:17]
	v_fma_f64 v[18:19], v[24:25], v[12:13], -v[18:19]
	v_fma_f64 v[12:13], v[26:27], v[12:13], v[14:15]
	v_add_f64 v[46:47], v[20:21], v[18:19]
	v_add_f64 v[50:51], v[16:17], v[12:13]
	v_mul_f64 v[12:13], v[58:59], v[10:11]
	v_mul_f64 v[10:11], v[56:57], v[10:11]
	v_fma_f64 v[12:13], v[56:57], v[8:9], -v[12:13]
	v_fma_f64 v[8:9], v[58:59], v[8:9], v[10:11]
	v_mul_f64 v[10:11], v[42:43], v[2:3]
	v_mul_f64 v[2:3], v[40:41], v[2:3]
	v_add_f64 v[12:13], v[12:13], 0
	v_add_f64 v[8:9], v[8:9], 0
	v_fma_f64 v[10:11], v[40:41], v[0:1], -v[10:11]
	v_fma_f64 v[0:1], v[42:43], v[0:1], v[2:3]
	v_add_f64 v[20:21], v[12:13], v[10:11]
	v_add_f64 v[42:43], v[8:9], v[0:1]
	global_load_dwordx4 v[0:3], v[44:45], off offset:176
	global_load_dwordx4 v[8:11], v[44:45], off offset:160
	;; [unrolled: 1-line block ×4, first 2 shown]
	s_waitcnt vmcnt(0)
	v_mul_f64 v[40:41], v[26:27], v[18:19]
	v_mul_f64 v[18:19], v[24:25], v[18:19]
	v_fma_f64 v[40:41], v[24:25], v[16:17], -v[40:41]
	v_fma_f64 v[16:17], v[26:27], v[16:17], v[18:19]
	v_mad_u64_u32 v[24:25], s[0:1], v22, 48, s[8:9]
	v_add_f64 v[40:41], v[20:21], v[40:41]
	v_add_f64 v[42:43], v[42:43], v[16:17]
	v_mov_b32_e32 v16, v25
	v_mad_u64_u32 v[16:17], s[0:1], v23, 48, v[16:17]
	v_mov_b32_e32 v25, v16
	global_load_dwordx4 v[16:19], v[24:25], off offset:32
	global_load_dwordx4 v[20:23], v[24:25], off offset:16
	s_nop 0
	global_load_dwordx4 v[24:27], v[24:25], off
	s_waitcnt vmcnt(0)
	v_mul_f64 v[48:49], v[14:15], v[26:27]
	v_fma_f64 v[48:49], v[12:13], v[24:25], -v[48:49]
	v_mul_f64 v[12:13], v[12:13], v[26:27]
	v_add_f64 v[48:49], v[48:49], 0
	v_fma_f64 v[12:13], v[24:25], v[14:15], v[12:13]
	v_mul_f64 v[14:15], v[10:11], v[22:23]
	v_add_f64 v[12:13], v[12:13], 0
	v_fma_f64 v[14:15], v[8:9], v[20:21], -v[14:15]
	v_mul_f64 v[8:9], v[8:9], v[22:23]
	v_add_f64 v[14:15], v[48:49], v[14:15]
	v_fma_f64 v[8:9], v[20:21], v[10:11], v[8:9]
	v_mul_f64 v[10:11], v[2:3], v[18:19]
	v_add_f64 v[8:9], v[12:13], v[8:9]
	v_fma_f64 v[10:11], v[0:1], v[16:17], -v[10:11]
	v_mul_f64 v[0:1], v[0:1], v[18:19]
	v_add_f64 v[10:11], v[14:15], v[10:11]
	v_fma_f64 v[0:1], v[16:17], v[2:3], v[0:1]
	v_add_f64 v[12:13], v[52:53], v[10:11]
	v_add_f64 v[0:1], v[8:9], v[0:1]
	;; [unrolled: 1-line block ×3, first 2 shown]
	global_load_dwordx4 v[0:3], v[44:45], off offset:240
	global_load_dwordx4 v[8:11], v[44:45], off offset:224
	;; [unrolled: 1-line block ×4, first 2 shown]
	s_waitcnt vmcnt(0)
	v_mul_f64 v[48:49], v[26:27], v[58:59]
	v_mul_f64 v[58:59], v[24:25], v[58:59]
	v_fma_f64 v[48:49], v[24:25], v[56:57], -v[48:49]
	v_fma_f64 v[56:57], v[26:27], v[56:57], v[58:59]
	v_mul_f64 v[58:59], v[22:23], v[54:55]
	v_mul_f64 v[54:55], v[20:21], v[54:55]
	v_add_f64 v[48:49], v[48:49], 0
	v_add_f64 v[56:57], v[56:57], 0
	v_fma_f64 v[58:59], v[20:21], v[52:53], -v[58:59]
	v_fma_f64 v[52:53], v[22:23], v[52:53], v[54:55]
	v_mul_f64 v[54:55], v[18:19], v[10:11]
	v_mul_f64 v[10:11], v[16:17], v[10:11]
	v_add_f64 v[48:49], v[48:49], v[58:59]
	v_add_f64 v[52:53], v[56:57], v[52:53]
	v_fma_f64 v[54:55], v[16:17], v[8:9], -v[54:55]
	v_fma_f64 v[8:9], v[18:19], v[8:9], v[10:11]
	v_add_f64 v[48:49], v[48:49], v[54:55]
	v_add_f64 v[8:9], v[52:53], v[8:9]
	;; [unrolled: 1-line block ×4, first 2 shown]
	v_mul_f64 v[8:9], v[26:27], v[2:3]
	v_mul_f64 v[2:3], v[24:25], v[2:3]
	v_fma_f64 v[8:9], v[24:25], v[0:1], -v[8:9]
	v_fma_f64 v[0:1], v[26:27], v[0:1], v[2:3]
	v_add_f64 v[54:55], v[8:9], 0
	v_add_f64 v[56:57], v[0:1], 0
	global_load_dwordx4 v[0:3], v[44:45], off offset:304
	global_load_dwordx4 v[8:11], v[44:45], off offset:288
	global_load_dwordx4 v[24:27], v[44:45], off offset:272
	global_load_dwordx4 v[50:53], v[44:45], off offset:256
	s_waitcnt vmcnt(0)
	v_mul_f64 v[58:59], v[22:23], v[52:53]
	v_fma_f64 v[58:59], v[20:21], v[50:51], -v[58:59]
	v_mul_f64 v[20:21], v[20:21], v[52:53]
	v_add_f64 v[54:55], v[54:55], v[58:59]
	v_fma_f64 v[20:21], v[22:23], v[50:51], v[20:21]
	v_mul_f64 v[22:23], v[18:19], v[26:27]
	v_add_f64 v[20:21], v[56:57], v[20:21]
	v_fma_f64 v[22:23], v[16:17], v[24:25], -v[22:23]
	v_mul_f64 v[16:17], v[16:17], v[26:27]
	v_add_f64 v[22:23], v[54:55], v[22:23]
	v_fma_f64 v[16:17], v[18:19], v[24:25], v[16:17]
	v_mad_u64_u32 v[24:25], s[0:1], v4, 48, s[8:9]
	v_mov_b32_e32 v4, v25
	v_mad_u64_u32 v[4:5], s[0:1], v5, 48, v[4:5]
	v_add_f64 v[16:17], v[20:21], v[16:17]
	v_add_f64 v[56:57], v[40:41], v[22:23]
	v_mov_b32_e32 v25, v4
	v_add_f64 v[58:59], v[42:43], v[16:17]
	global_load_dwordx4 v[16:19], v[24:25], off offset:32
	global_load_dwordx4 v[20:23], v[24:25], off offset:16
	s_nop 0
	global_load_dwordx4 v[24:27], v[24:25], off
	s_waitcnt vmcnt(0)
	v_mul_f64 v[4:5], v[10:11], v[26:27]
	v_fma_f64 v[4:5], v[8:9], v[24:25], -v[4:5]
	v_mul_f64 v[8:9], v[8:9], v[26:27]
	v_add_f64 v[4:5], v[4:5], 0
	v_fma_f64 v[8:9], v[24:25], v[10:11], v[8:9]
	v_mul_f64 v[10:11], v[2:3], v[22:23]
	v_add_f64 v[8:9], v[8:9], 0
	v_fma_f64 v[10:11], v[0:1], v[20:21], -v[10:11]
	v_mul_f64 v[0:1], v[0:1], v[22:23]
	v_add_f64 v[4:5], v[4:5], v[10:11]
	v_fma_f64 v[0:1], v[20:21], v[2:3], v[0:1]
	v_add_f64 v[50:51], v[8:9], v[0:1]
	global_load_dwordx4 v[0:3], v[44:45], off offset:368
	global_load_dwordx4 v[8:11], v[44:45], off offset:352
	;; [unrolled: 1-line block ×4, first 2 shown]
	s_waitcnt vmcnt(0)
	v_mul_f64 v[60:61], v[42:43], v[18:19]
	v_fma_f64 v[60:61], v[40:41], v[16:17], -v[60:61]
	v_mul_f64 v[40:41], v[40:41], v[18:19]
	v_add_f64 v[4:5], v[4:5], v[60:61]
	v_fma_f64 v[40:41], v[16:17], v[42:43], v[40:41]
	v_add_f64 v[42:43], v[50:51], v[40:41]
	v_add_f64 v[40:41], v[12:13], v[4:5]
	v_mul_f64 v[4:5], v[26:27], v[54:55]
	v_mul_f64 v[12:13], v[24:25], v[54:55]
	v_add_f64 v[50:51], v[14:15], v[42:43]
	v_mul_f64 v[14:15], v[22:23], v[10:11]
	v_fma_f64 v[4:5], v[24:25], v[52:53], -v[4:5]
	v_fma_f64 v[12:13], v[26:27], v[52:53], v[12:13]
	v_mul_f64 v[10:11], v[20:21], v[10:11]
	v_fma_f64 v[14:15], v[20:21], v[8:9], -v[14:15]
	v_add_f64 v[4:5], v[4:5], 0
	v_add_f64 v[12:13], v[12:13], 0
	v_fma_f64 v[8:9], v[22:23], v[8:9], v[10:11]
	v_mul_f64 v[10:11], v[18:19], v[2:3]
	v_mul_f64 v[2:3], v[16:17], v[2:3]
	v_add_f64 v[4:5], v[4:5], v[14:15]
	v_add_f64 v[8:9], v[12:13], v[8:9]
	v_fma_f64 v[10:11], v[16:17], v[0:1], -v[10:11]
	v_fma_f64 v[0:1], v[18:19], v[0:1], v[2:3]
	v_add_f64 v[4:5], v[4:5], v[10:11]
	v_add_f64 v[0:1], v[8:9], v[0:1]
	;; [unrolled: 1-line block ×4, first 2 shown]
	global_load_dwordx4 v[0:3], v[44:45], off offset:432
	global_load_dwordx4 v[8:11], v[44:45], off offset:416
	;; [unrolled: 1-line block ×4, first 2 shown]
	s_waitcnt vmcnt(0)
	v_mul_f64 v[4:5], v[26:27], v[48:49]
	v_fma_f64 v[4:5], v[24:25], v[46:47], -v[4:5]
	v_mul_f64 v[24:25], v[24:25], v[48:49]
	v_add_f64 v[4:5], v[4:5], 0
	v_fma_f64 v[24:25], v[26:27], v[46:47], v[24:25]
	v_mul_f64 v[26:27], v[22:23], v[14:15]
	v_mul_f64 v[14:15], v[20:21], v[14:15]
	v_add_f64 v[24:25], v[24:25], 0
	v_fma_f64 v[26:27], v[20:21], v[12:13], -v[26:27]
	v_fma_f64 v[12:13], v[22:23], v[12:13], v[14:15]
	v_mul_f64 v[14:15], v[18:19], v[10:11]
	v_mul_f64 v[10:11], v[16:17], v[10:11]
	v_add_f64 v[4:5], v[4:5], v[26:27]
	v_add_f64 v[12:13], v[24:25], v[12:13]
	v_fma_f64 v[14:15], v[16:17], v[8:9], -v[14:15]
	v_fma_f64 v[8:9], v[18:19], v[8:9], v[10:11]
	v_add_f64 v[4:5], v[4:5], v[14:15]
	v_add_f64 v[8:9], v[12:13], v[8:9]
	v_mad_u64_u32 v[12:13], s[0:1], v6, 48, s[8:9]
	v_add_f64 v[46:47], v[56:57], v[4:5]
	v_mov_b32_e32 v4, v13
	v_mad_u64_u32 v[4:5], s[0:1], v7, 48, v[4:5]
	v_add_f64 v[42:43], v[58:59], v[8:9]
	v_mov_b32_e32 v13, v4
	global_load_dwordx4 v[4:7], v[12:13], off offset:32
	global_load_dwordx4 v[8:11], v[12:13], off offset:16
	s_nop 0
	global_load_dwordx4 v[12:15], v[12:13], off
	s_nop 0
	global_load_dwordx4 v[16:19], v[44:45], off offset:560
	global_load_dwordx4 v[20:23], v[44:45], off offset:544
	;; [unrolled: 1-line block ×4, first 2 shown]
	s_waitcnt vmcnt(2)
	v_mul_f64 v[60:61], v[8:9], v[22:23]
	s_waitcnt vmcnt(1)
	v_mul_f64 v[48:49], v[12:13], v[58:59]
	v_mul_f64 v[22:23], v[10:11], v[22:23]
	v_fma_f64 v[60:61], v[10:11], v[20:21], v[60:61]
	v_fma_f64 v[48:49], v[14:15], v[56:57], v[48:49]
	v_fma_f64 v[20:21], v[8:9], v[20:21], -v[22:23]
	v_add_f64 v[48:49], v[48:49], 0
	v_add_f64 v[48:49], v[48:49], v[60:61]
	v_mul_f64 v[60:61], v[4:5], v[18:19]
	v_mul_f64 v[18:19], v[6:7], v[18:19]
	v_fma_f64 v[60:61], v[6:7], v[16:17], v[60:61]
	v_fma_f64 v[16:17], v[4:5], v[16:17], -v[18:19]
	v_add_f64 v[48:49], v[48:49], v[60:61]
	v_add_f64 v[42:43], v[42:43], v[48:49]
	v_mul_f64 v[48:49], v[14:15], v[58:59]
	v_fma_f64 v[48:49], v[12:13], v[56:57], -v[48:49]
	v_add_f64 v[48:49], v[48:49], 0
	v_add_f64 v[20:21], v[48:49], v[20:21]
	;; [unrolled: 1-line block ×4, first 2 shown]
	global_load_dwordx4 v[56:59], v[44:45], off offset:496
	global_load_dwordx4 v[60:63], v[44:45], off offset:480
	;; [unrolled: 1-line block ×4, first 2 shown]
	s_waitcnt vmcnt(3)
	v_mul_f64 v[48:49], v[8:9], v[58:59]
	s_waitcnt vmcnt(2)
	v_mul_f64 v[44:45], v[12:13], v[62:63]
	v_fma_f64 v[48:49], v[10:11], v[56:57], v[48:49]
	v_fma_f64 v[44:45], v[14:15], v[60:61], v[44:45]
	v_add_f64 v[44:45], v[44:45], 0
	v_add_f64 v[44:45], v[44:45], v[48:49]
	v_mul_f64 v[48:49], v[4:5], v[26:27]
	v_mul_f64 v[26:27], v[6:7], v[26:27]
	v_fma_f64 v[48:49], v[6:7], v[24:25], v[48:49]
	v_fma_f64 v[24:25], v[4:5], v[24:25], -v[26:27]
	v_mul_f64 v[26:27], v[0:1], v[14:15]
	v_add_f64 v[44:45], v[44:45], v[48:49]
	v_mul_f64 v[48:49], v[14:15], v[62:63]
	v_fma_f64 v[26:27], v[12:13], v[2:3], v[26:27]
	v_mul_f64 v[2:3], v[2:3], v[14:15]
	v_add_f64 v[44:45], v[54:55], v[44:45]
	v_fma_f64 v[48:49], v[12:13], v[60:61], -v[48:49]
	v_mul_f64 v[54:55], v[10:11], v[58:59]
	v_fma_f64 v[0:1], v[0:1], v[12:13], -v[2:3]
	s_waitcnt vmcnt(0)
	v_mul_f64 v[2:3], v[22:23], v[10:11]
	v_add_f64 v[26:27], v[26:27], 0
	v_add_f64 v[48:49], v[48:49], 0
	v_fma_f64 v[54:55], v[8:9], v[56:57], -v[54:55]
	v_add_f64 v[0:1], v[0:1], 0
	v_fma_f64 v[2:3], v[20:21], v[8:9], -v[2:3]
	v_add_f64 v[48:49], v[48:49], v[54:55]
	v_add_f64 v[0:1], v[0:1], v[2:3]
	v_mul_f64 v[2:3], v[18:19], v[6:7]
	v_add_f64 v[24:25], v[48:49], v[24:25]
	v_mul_f64 v[48:49], v[20:21], v[10:11]
	v_fma_f64 v[2:3], v[16:17], v[4:5], -v[2:3]
	v_add_f64 v[24:25], v[52:53], v[24:25]
	v_fma_f64 v[48:49], v[8:9], v[22:23], v[48:49]
	v_add_f64 v[0:1], v[0:1], v[2:3]
	v_add_f64 v[26:27], v[26:27], v[48:49]
	v_mul_f64 v[48:49], v[16:17], v[6:7]
	v_add_f64 v[0:1], v[40:41], v[0:1]
	v_fma_f64 v[48:49], v[4:5], v[18:19], v[48:49]
	buffer_load_dword v4, off, s[24:27], 0  ; 4-byte Folded Reload
	buffer_load_dword v5, off, s[24:27], 0 offset:4 ; 4-byte Folded Reload
	v_add_f64 v[0:1], v[36:37], -v[0:1]
	v_add_f64 v[26:27], v[26:27], v[48:49]
	v_add_f64 v[26:27], v[50:51], v[26:27]
	v_add_f64 v[2:3], v[38:39], -v[26:27]
	s_waitcnt vmcnt(0)
	global_store_dwordx4 v[4:5], v[0:3], off
	s_nop 0
	v_add_f64 v[0:1], v[32:33], -v[24:25]
	v_add_f64 v[2:3], v[34:35], -v[44:45]
	global_store_dwordx4 v[4:5], v[0:3], off offset:16
	s_nop 0
	v_add_f64 v[0:1], v[28:29], -v[46:47]
	v_add_f64 v[2:3], v[30:31], -v[42:43]
	global_store_dwordx4 v[4:5], v[0:3], off offset:32
.LBB1_2:
	s_endpgm
	.section	.rodata,"a",@progbits
	.p2align	6, 0x0
	.amdhsa_kernel _Z6dslashPK11dsu3_matrixS1_S1_S1_PK11dsu3_vectorPS2_PKmS7_S7_S7_i
		.amdhsa_group_segment_fixed_size 0
		.amdhsa_private_segment_fixed_size 76
		.amdhsa_kernarg_size 344
		.amdhsa_user_sgpr_count 6
		.amdhsa_user_sgpr_private_segment_buffer 1
		.amdhsa_user_sgpr_dispatch_ptr 0
		.amdhsa_user_sgpr_queue_ptr 0
		.amdhsa_user_sgpr_kernarg_segment_ptr 1
		.amdhsa_user_sgpr_dispatch_id 0
		.amdhsa_user_sgpr_flat_scratch_init 0
		.amdhsa_user_sgpr_private_segment_size 0
		.amdhsa_uses_dynamic_stack 0
		.amdhsa_system_sgpr_private_segment_wavefront_offset 1
		.amdhsa_system_sgpr_workgroup_id_x 1
		.amdhsa_system_sgpr_workgroup_id_y 0
		.amdhsa_system_sgpr_workgroup_id_z 0
		.amdhsa_system_sgpr_workgroup_info 0
		.amdhsa_system_vgpr_workitem_id 0
		.amdhsa_next_free_vgpr 64
		.amdhsa_next_free_sgpr 28
		.amdhsa_reserve_vcc 1
		.amdhsa_reserve_flat_scratch 0
		.amdhsa_float_round_mode_32 0
		.amdhsa_float_round_mode_16_64 0
		.amdhsa_float_denorm_mode_32 3
		.amdhsa_float_denorm_mode_16_64 3
		.amdhsa_dx10_clamp 1
		.amdhsa_ieee_mode 1
		.amdhsa_fp16_overflow 0
		.amdhsa_exception_fp_ieee_invalid_op 0
		.amdhsa_exception_fp_denorm_src 0
		.amdhsa_exception_fp_ieee_div_zero 0
		.amdhsa_exception_fp_ieee_overflow 0
		.amdhsa_exception_fp_ieee_underflow 0
		.amdhsa_exception_fp_ieee_inexact 0
		.amdhsa_exception_int_div_zero 0
	.end_amdhsa_kernel
	.text
.Lfunc_end1:
	.size	_Z6dslashPK11dsu3_matrixS1_S1_S1_PK11dsu3_vectorPS2_PKmS7_S7_S7_i, .Lfunc_end1-_Z6dslashPK11dsu3_matrixS1_S1_S1_PK11dsu3_vectorPS2_PKmS7_S7_S7_i
                                        ; -- End function
	.set _Z6dslashPK11dsu3_matrixS1_S1_S1_PK11dsu3_vectorPS2_PKmS7_S7_S7_i.num_vgpr, 64
	.set _Z6dslashPK11dsu3_matrixS1_S1_S1_PK11dsu3_vectorPS2_PKmS7_S7_S7_i.num_agpr, 0
	.set _Z6dslashPK11dsu3_matrixS1_S1_S1_PK11dsu3_vectorPS2_PKmS7_S7_S7_i.numbered_sgpr, 28
	.set _Z6dslashPK11dsu3_matrixS1_S1_S1_PK11dsu3_vectorPS2_PKmS7_S7_S7_i.num_named_barrier, 0
	.set _Z6dslashPK11dsu3_matrixS1_S1_S1_PK11dsu3_vectorPS2_PKmS7_S7_S7_i.private_seg_size, 76
	.set _Z6dslashPK11dsu3_matrixS1_S1_S1_PK11dsu3_vectorPS2_PKmS7_S7_S7_i.uses_vcc, 1
	.set _Z6dslashPK11dsu3_matrixS1_S1_S1_PK11dsu3_vectorPS2_PKmS7_S7_S7_i.uses_flat_scratch, 0
	.set _Z6dslashPK11dsu3_matrixS1_S1_S1_PK11dsu3_vectorPS2_PKmS7_S7_S7_i.has_dyn_sized_stack, 0
	.set _Z6dslashPK11dsu3_matrixS1_S1_S1_PK11dsu3_vectorPS2_PKmS7_S7_S7_i.has_recursion, 0
	.set _Z6dslashPK11dsu3_matrixS1_S1_S1_PK11dsu3_vectorPS2_PKmS7_S7_S7_i.has_indirect_call, 0
	.section	.AMDGPU.csdata,"",@progbits
; Kernel info:
; codeLenInByte = 10776
; TotalNumSgprs: 32
; NumVgprs: 64
; ScratchSize: 76
; MemoryBound: 0
; FloatMode: 240
; IeeeMode: 1
; LDSByteSize: 0 bytes/workgroup (compile time only)
; SGPRBlocks: 3
; VGPRBlocks: 15
; NumSGPRsForWavesPerEU: 32
; NumVGPRsForWavesPerEU: 64
; Occupancy: 4
; WaveLimiterHint : 1
; COMPUTE_PGM_RSRC2:SCRATCH_EN: 1
; COMPUTE_PGM_RSRC2:USER_SGPR: 6
; COMPUTE_PGM_RSRC2:TRAP_HANDLER: 0
; COMPUTE_PGM_RSRC2:TGID_X_EN: 1
; COMPUTE_PGM_RSRC2:TGID_Y_EN: 0
; COMPUTE_PGM_RSRC2:TGID_Z_EN: 0
; COMPUTE_PGM_RSRC2:TIDIG_COMP_CNT: 0
	.section	.AMDGPU.gpr_maximums,"",@progbits
	.set amdgpu.max_num_vgpr, 0
	.set amdgpu.max_num_agpr, 0
	.set amdgpu.max_num_sgpr, 0
	.section	.AMDGPU.csdata,"",@progbits
	.type	__hip_cuid_321445e89aeb66aa,@object ; @__hip_cuid_321445e89aeb66aa
	.section	.bss,"aw",@nobits
	.globl	__hip_cuid_321445e89aeb66aa
__hip_cuid_321445e89aeb66aa:
	.byte	0                               ; 0x0
	.size	__hip_cuid_321445e89aeb66aa, 1

	.ident	"AMD clang version 22.0.0git (https://github.com/RadeonOpenCompute/llvm-project roc-7.2.4 26084 f58b06dce1f9c15707c5f808fd002e18c2accf7e)"
	.section	".note.GNU-stack","",@progbits
	.addrsig
	.addrsig_sym __hip_cuid_321445e89aeb66aa
	.amdgpu_metadata
---
amdhsa.kernels:
  - .args:
      - .actual_access:  read_only
        .address_space:  global
        .offset:         0
        .size:           8
        .value_kind:     global_buffer
      - .actual_access:  read_only
        .address_space:  global
        .offset:         8
        .size:           8
        .value_kind:     global_buffer
      - .actual_access:  read_only
        .address_space:  global
        .offset:         16
        .size:           8
        .value_kind:     global_buffer
      - .actual_access:  read_only
        .address_space:  global
        .offset:         24
        .size:           8
        .value_kind:     global_buffer
      - .actual_access:  write_only
        .address_space:  global
        .offset:         32
        .size:           8
        .value_kind:     global_buffer
      - .actual_access:  write_only
        .address_space:  global
        .offset:         40
        .size:           8
        .value_kind:     global_buffer
      - .offset:         48
        .size:           4
        .value_kind:     by_value
      - .offset:         56
        .size:           4
        .value_kind:     hidden_block_count_x
      - .offset:         60
        .size:           4
        .value_kind:     hidden_block_count_y
      - .offset:         64
        .size:           4
        .value_kind:     hidden_block_count_z
      - .offset:         68
        .size:           2
        .value_kind:     hidden_group_size_x
      - .offset:         70
        .size:           2
        .value_kind:     hidden_group_size_y
      - .offset:         72
        .size:           2
        .value_kind:     hidden_group_size_z
      - .offset:         74
        .size:           2
        .value_kind:     hidden_remainder_x
      - .offset:         76
        .size:           2
        .value_kind:     hidden_remainder_y
      - .offset:         78
        .size:           2
        .value_kind:     hidden_remainder_z
      - .offset:         96
        .size:           8
        .value_kind:     hidden_global_offset_x
      - .offset:         104
        .size:           8
        .value_kind:     hidden_global_offset_y
      - .offset:         112
        .size:           8
        .value_kind:     hidden_global_offset_z
      - .offset:         120
        .size:           2
        .value_kind:     hidden_grid_dims
    .group_segment_fixed_size: 0
    .kernarg_segment_align: 8
    .kernarg_segment_size: 312
    .language:       OpenCL C
    .language_version:
      - 2
      - 0
    .max_flat_workgroup_size: 1024
    .name:           _Z9make_backPK11dsu3_matrixS1_PKmS3_PS_S4_i
    .private_segment_fixed_size: 0
    .sgpr_count:     20
    .sgpr_spill_count: 0
    .symbol:         _Z9make_backPK11dsu3_matrixS1_PKmS3_PS_S4_i.kd
    .uniform_work_group_size: 1
    .uses_dynamic_stack: false
    .vgpr_count:     20
    .vgpr_spill_count: 0
    .wavefront_size: 64
  - .args:
      - .actual_access:  read_only
        .address_space:  global
        .offset:         0
        .size:           8
        .value_kind:     global_buffer
      - .actual_access:  read_only
        .address_space:  global
        .offset:         8
        .size:           8
        .value_kind:     global_buffer
      - .actual_access:  read_only
        .address_space:  global
        .offset:         16
        .size:           8
        .value_kind:     global_buffer
      - .actual_access:  read_only
        .address_space:  global
        .offset:         24
        .size:           8
        .value_kind:     global_buffer
      - .actual_access:  read_only
        .address_space:  global
        .offset:         32
        .size:           8
        .value_kind:     global_buffer
      - .address_space:  global
        .offset:         40
        .size:           8
        .value_kind:     global_buffer
      - .actual_access:  read_only
        .address_space:  global
        .offset:         48
        .size:           8
        .value_kind:     global_buffer
      - .actual_access:  read_only
        .address_space:  global
        .offset:         56
        .size:           8
        .value_kind:     global_buffer
      - .actual_access:  read_only
        .address_space:  global
        .offset:         64
        .size:           8
        .value_kind:     global_buffer
      - .actual_access:  read_only
        .address_space:  global
        .offset:         72
        .size:           8
        .value_kind:     global_buffer
      - .offset:         80
        .size:           4
        .value_kind:     by_value
      - .offset:         88
        .size:           4
        .value_kind:     hidden_block_count_x
      - .offset:         92
        .size:           4
        .value_kind:     hidden_block_count_y
      - .offset:         96
        .size:           4
        .value_kind:     hidden_block_count_z
      - .offset:         100
        .size:           2
        .value_kind:     hidden_group_size_x
      - .offset:         102
        .size:           2
        .value_kind:     hidden_group_size_y
      - .offset:         104
        .size:           2
        .value_kind:     hidden_group_size_z
      - .offset:         106
        .size:           2
        .value_kind:     hidden_remainder_x
      - .offset:         108
        .size:           2
        .value_kind:     hidden_remainder_y
      - .offset:         110
        .size:           2
        .value_kind:     hidden_remainder_z
      - .offset:         128
        .size:           8
        .value_kind:     hidden_global_offset_x
      - .offset:         136
        .size:           8
        .value_kind:     hidden_global_offset_y
      - .offset:         144
        .size:           8
        .value_kind:     hidden_global_offset_z
      - .offset:         152
        .size:           2
        .value_kind:     hidden_grid_dims
    .group_segment_fixed_size: 0
    .kernarg_segment_align: 8
    .kernarg_segment_size: 344
    .language:       OpenCL C
    .language_version:
      - 2
      - 0
    .max_flat_workgroup_size: 1024
    .name:           _Z6dslashPK11dsu3_matrixS1_S1_S1_PK11dsu3_vectorPS2_PKmS7_S7_S7_i
    .private_segment_fixed_size: 76
    .sgpr_count:     32
    .sgpr_spill_count: 0
    .symbol:         _Z6dslashPK11dsu3_matrixS1_S1_S1_PK11dsu3_vectorPS2_PKmS7_S7_S7_i.kd
    .uniform_work_group_size: 1
    .uses_dynamic_stack: false
    .vgpr_count:     64
    .vgpr_spill_count: 22
    .wavefront_size: 64
amdhsa.target:   amdgcn-amd-amdhsa--gfx906
amdhsa.version:
  - 1
  - 2
...

	.end_amdgpu_metadata
